;; amdgpu-corpus repo=ROCm/rocFFT kind=compiled arch=gfx950 opt=O3
	.text
	.amdgcn_target "amdgcn-amd-amdhsa--gfx950"
	.amdhsa_code_object_version 6
	.protected	fft_rtc_fwd_len945_factors_3_3_3_5_7_wgs_63_tpt_63_halfLds_sp_ip_CI_unitstride_sbrr_dirReg ; -- Begin function fft_rtc_fwd_len945_factors_3_3_3_5_7_wgs_63_tpt_63_halfLds_sp_ip_CI_unitstride_sbrr_dirReg
	.globl	fft_rtc_fwd_len945_factors_3_3_3_5_7_wgs_63_tpt_63_halfLds_sp_ip_CI_unitstride_sbrr_dirReg
	.p2align	8
	.type	fft_rtc_fwd_len945_factors_3_3_3_5_7_wgs_63_tpt_63_halfLds_sp_ip_CI_unitstride_sbrr_dirReg,@function
fft_rtc_fwd_len945_factors_3_3_3_5_7_wgs_63_tpt_63_halfLds_sp_ip_CI_unitstride_sbrr_dirReg: ; @fft_rtc_fwd_len945_factors_3_3_3_5_7_wgs_63_tpt_63_halfLds_sp_ip_CI_unitstride_sbrr_dirReg
; %bb.0:
	s_load_dwordx2 s[8:9], s[0:1], 0x50
	s_load_dwordx4 s[4:7], s[0:1], 0x0
	s_load_dwordx2 s[10:11], s[0:1], 0x18
	v_mul_u32_u24_e32 v1, 0x411, v0
	v_add_u32_sdwa v6, s2, v1 dst_sel:DWORD dst_unused:UNUSED_PAD src0_sel:DWORD src1_sel:WORD_1
	v_mov_b32_e32 v4, 0
	s_waitcnt lgkmcnt(0)
	v_cmp_lt_u64_e64 s[2:3], s[6:7], 2
	v_mov_b32_e32 v7, v4
	s_and_b64 vcc, exec, s[2:3]
	v_mov_b64_e32 v[2:3], 0
	s_cbranch_vccnz .LBB0_8
; %bb.1:
	s_load_dwordx2 s[2:3], s[0:1], 0x10
	s_add_u32 s12, s10, 8
	s_addc_u32 s13, s11, 0
	s_mov_b64 s[14:15], 1
	v_mov_b64_e32 v[2:3], 0
	s_waitcnt lgkmcnt(0)
	s_add_u32 s16, s2, 8
	s_addc_u32 s17, s3, 0
.LBB0_2:                                ; =>This Inner Loop Header: Depth=1
	s_load_dwordx2 s[18:19], s[16:17], 0x0
                                        ; implicit-def: $vgpr8_vgpr9
	s_waitcnt lgkmcnt(0)
	v_or_b32_e32 v5, s19, v7
	v_cmp_ne_u64_e32 vcc, 0, v[4:5]
	s_and_saveexec_b64 s[2:3], vcc
	s_xor_b64 s[20:21], exec, s[2:3]
	s_cbranch_execz .LBB0_4
; %bb.3:                                ;   in Loop: Header=BB0_2 Depth=1
	v_cvt_f32_u32_e32 v1, s18
	v_cvt_f32_u32_e32 v5, s19
	s_sub_u32 s2, 0, s18
	s_subb_u32 s3, 0, s19
	v_fmac_f32_e32 v1, 0x4f800000, v5
	v_rcp_f32_e32 v1, v1
	s_nop 0
	v_mul_f32_e32 v1, 0x5f7ffffc, v1
	v_mul_f32_e32 v5, 0x2f800000, v1
	v_trunc_f32_e32 v5, v5
	v_fmac_f32_e32 v1, 0xcf800000, v5
	v_cvt_u32_f32_e32 v5, v5
	v_cvt_u32_f32_e32 v1, v1
	v_mul_lo_u32 v8, s2, v5
	v_mul_hi_u32 v10, s2, v1
	v_mul_lo_u32 v9, s3, v1
	v_add_u32_e32 v10, v10, v8
	v_mul_lo_u32 v12, s2, v1
	v_add_u32_e32 v13, v10, v9
	v_mul_hi_u32 v8, v1, v12
	v_mul_hi_u32 v11, v1, v13
	v_mul_lo_u32 v10, v1, v13
	v_mov_b32_e32 v9, v4
	v_lshl_add_u64 v[8:9], v[8:9], 0, v[10:11]
	v_mul_hi_u32 v11, v5, v12
	v_mul_lo_u32 v12, v5, v12
	v_add_co_u32_e32 v8, vcc, v8, v12
	v_mul_hi_u32 v10, v5, v13
	s_nop 0
	v_addc_co_u32_e32 v8, vcc, v9, v11, vcc
	v_mov_b32_e32 v9, v4
	s_nop 0
	v_addc_co_u32_e32 v11, vcc, 0, v10, vcc
	v_mul_lo_u32 v10, v5, v13
	v_lshl_add_u64 v[8:9], v[8:9], 0, v[10:11]
	v_add_co_u32_e32 v1, vcc, v1, v8
	v_mul_lo_u32 v10, s2, v1
	s_nop 0
	v_addc_co_u32_e32 v5, vcc, v5, v9, vcc
	v_mul_lo_u32 v8, s2, v5
	v_mul_hi_u32 v9, s2, v1
	v_add_u32_e32 v8, v9, v8
	v_mul_lo_u32 v9, s3, v1
	v_add_u32_e32 v12, v8, v9
	v_mul_hi_u32 v14, v5, v10
	v_mul_lo_u32 v15, v5, v10
	v_mul_hi_u32 v9, v1, v12
	v_mul_lo_u32 v8, v1, v12
	v_mul_hi_u32 v10, v1, v10
	v_mov_b32_e32 v11, v4
	v_lshl_add_u64 v[8:9], v[10:11], 0, v[8:9]
	v_add_co_u32_e32 v8, vcc, v8, v15
	v_mul_hi_u32 v13, v5, v12
	s_nop 0
	v_addc_co_u32_e32 v8, vcc, v9, v14, vcc
	v_mul_lo_u32 v10, v5, v12
	s_nop 0
	v_addc_co_u32_e32 v11, vcc, 0, v13, vcc
	v_mov_b32_e32 v9, v4
	v_lshl_add_u64 v[8:9], v[8:9], 0, v[10:11]
	v_add_co_u32_e32 v1, vcc, v1, v8
	v_mul_hi_u32 v10, v6, v1
	s_nop 0
	v_addc_co_u32_e32 v5, vcc, v5, v9, vcc
	v_mad_u64_u32 v[8:9], s[2:3], v6, v5, 0
	v_mov_b32_e32 v11, v4
	v_lshl_add_u64 v[8:9], v[10:11], 0, v[8:9]
	v_mad_u64_u32 v[12:13], s[2:3], v7, v1, 0
	v_add_co_u32_e32 v1, vcc, v8, v12
	v_mad_u64_u32 v[10:11], s[2:3], v7, v5, 0
	s_nop 0
	v_addc_co_u32_e32 v8, vcc, v9, v13, vcc
	v_mov_b32_e32 v9, v4
	s_nop 0
	v_addc_co_u32_e32 v11, vcc, 0, v11, vcc
	v_lshl_add_u64 v[8:9], v[8:9], 0, v[10:11]
	v_mul_lo_u32 v1, s19, v8
	v_mul_lo_u32 v5, s18, v9
	v_mad_u64_u32 v[10:11], s[2:3], s18, v8, 0
	v_add3_u32 v1, v11, v5, v1
	v_sub_u32_e32 v5, v7, v1
	v_mov_b32_e32 v11, s19
	v_sub_co_u32_e32 v14, vcc, v6, v10
	v_lshl_add_u64 v[12:13], v[8:9], 0, 1
	s_nop 0
	v_subb_co_u32_e64 v5, s[2:3], v5, v11, vcc
	v_subrev_co_u32_e64 v10, s[2:3], s18, v14
	v_subb_co_u32_e32 v1, vcc, v7, v1, vcc
	s_nop 0
	v_subbrev_co_u32_e64 v5, s[2:3], 0, v5, s[2:3]
	v_cmp_le_u32_e64 s[2:3], s19, v5
	v_cmp_le_u32_e32 vcc, s19, v1
	s_nop 0
	v_cndmask_b32_e64 v11, 0, -1, s[2:3]
	v_cmp_le_u32_e64 s[2:3], s18, v10
	s_nop 1
	v_cndmask_b32_e64 v10, 0, -1, s[2:3]
	v_cmp_eq_u32_e64 s[2:3], s19, v5
	s_nop 1
	v_cndmask_b32_e64 v5, v11, v10, s[2:3]
	v_lshl_add_u64 v[10:11], v[8:9], 0, 2
	v_cmp_ne_u32_e64 s[2:3], 0, v5
	s_nop 1
	v_cndmask_b32_e64 v5, v13, v11, s[2:3]
	v_cndmask_b32_e64 v11, 0, -1, vcc
	v_cmp_le_u32_e32 vcc, s18, v14
	s_nop 1
	v_cndmask_b32_e64 v13, 0, -1, vcc
	v_cmp_eq_u32_e32 vcc, s19, v1
	s_nop 1
	v_cndmask_b32_e32 v1, v11, v13, vcc
	v_cmp_ne_u32_e32 vcc, 0, v1
	v_cndmask_b32_e64 v1, v12, v10, s[2:3]
	s_nop 0
	v_cndmask_b32_e32 v9, v9, v5, vcc
	v_cndmask_b32_e32 v8, v8, v1, vcc
.LBB0_4:                                ;   in Loop: Header=BB0_2 Depth=1
	s_andn2_saveexec_b64 s[2:3], s[20:21]
	s_cbranch_execz .LBB0_6
; %bb.5:                                ;   in Loop: Header=BB0_2 Depth=1
	v_cvt_f32_u32_e32 v1, s18
	s_sub_i32 s20, 0, s18
	v_rcp_iflag_f32_e32 v1, v1
	s_nop 0
	v_mul_f32_e32 v1, 0x4f7ffffe, v1
	v_cvt_u32_f32_e32 v1, v1
	v_mul_lo_u32 v5, s20, v1
	v_mul_hi_u32 v5, v1, v5
	v_add_u32_e32 v1, v1, v5
	v_mul_hi_u32 v1, v6, v1
	v_mul_lo_u32 v5, v1, s18
	v_sub_u32_e32 v5, v6, v5
	v_add_u32_e32 v8, 1, v1
	v_subrev_u32_e32 v9, s18, v5
	v_cmp_le_u32_e32 vcc, s18, v5
	s_nop 1
	v_cndmask_b32_e32 v5, v5, v9, vcc
	v_cndmask_b32_e32 v1, v1, v8, vcc
	v_add_u32_e32 v8, 1, v1
	v_cmp_le_u32_e32 vcc, s18, v5
	v_mov_b32_e32 v9, v4
	s_nop 0
	v_cndmask_b32_e32 v8, v1, v8, vcc
.LBB0_6:                                ;   in Loop: Header=BB0_2 Depth=1
	s_or_b64 exec, exec, s[2:3]
	v_mad_u64_u32 v[10:11], s[2:3], v8, s18, 0
	s_load_dwordx2 s[2:3], s[12:13], 0x0
	v_mul_lo_u32 v1, v9, s18
	v_mul_lo_u32 v5, v8, s19
	v_add3_u32 v1, v11, v5, v1
	v_sub_co_u32_e32 v5, vcc, v6, v10
	s_add_u32 s14, s14, 1
	s_nop 0
	v_subb_co_u32_e32 v1, vcc, v7, v1, vcc
	s_addc_u32 s15, s15, 0
	s_waitcnt lgkmcnt(0)
	v_mul_lo_u32 v1, s2, v1
	v_mul_lo_u32 v6, s3, v5
	v_mad_u64_u32 v[2:3], s[2:3], s2, v5, v[2:3]
	s_add_u32 s12, s12, 8
	v_add3_u32 v3, v6, v3, v1
	s_addc_u32 s13, s13, 0
	v_mov_b64_e32 v[6:7], s[6:7]
	s_add_u32 s16, s16, 8
	v_cmp_ge_u64_e32 vcc, s[14:15], v[6:7]
	s_addc_u32 s17, s17, 0
	s_cbranch_vccnz .LBB0_9
; %bb.7:                                ;   in Loop: Header=BB0_2 Depth=1
	v_mov_b64_e32 v[6:7], v[8:9]
	s_branch .LBB0_2
.LBB0_8:
	v_mov_b64_e32 v[8:9], v[6:7]
.LBB0_9:
	s_lshl_b64 s[2:3], s[6:7], 3
	s_add_u32 s2, s10, s2
	s_addc_u32 s3, s11, s3
	s_load_dwordx2 s[6:7], s[2:3], 0x0
	s_load_dwordx2 s[10:11], s[0:1], 0x20
	s_mov_b32 s2, 0x4104105
                                        ; implicit-def: $vgpr40
                                        ; implicit-def: $vgpr20
                                        ; implicit-def: $vgpr18
                                        ; implicit-def: $vgpr16
                                        ; implicit-def: $vgpr22
                                        ; implicit-def: $vgpr6
                                        ; implicit-def: $vgpr10
                                        ; implicit-def: $vgpr36
                                        ; implicit-def: $vgpr28
                                        ; implicit-def: $vgpr34
                                        ; implicit-def: $vgpr26
                                        ; implicit-def: $vgpr38
                                        ; implicit-def: $vgpr30
                                        ; implicit-def: $vgpr24
                                        ; implicit-def: $vgpr42
                                        ; implicit-def: $vgpr32
	s_waitcnt lgkmcnt(0)
	v_mul_lo_u32 v1, s6, v9
	v_mul_lo_u32 v4, s7, v8
	v_mad_u64_u32 v[2:3], s[0:1], s6, v8, v[2:3]
	v_add3_u32 v3, v4, v3, v1
	v_mul_hi_u32 v1, v0, s2
	v_mul_u32_u24_e32 v1, 63, v1
	v_cmp_gt_u64_e64 s[0:1], s[10:11], v[8:9]
	v_sub_u32_e32 v12, v0, v1
	v_lshl_add_u64 v[14:15], v[2:3], 3, s[8:9]
                                        ; implicit-def: $vgpr4
                                        ; implicit-def: $vgpr0
                                        ; implicit-def: $vgpr2
                                        ; implicit-def: $vgpr8
	s_and_saveexec_b64 s[2:3], s[0:1]
	s_cbranch_execz .LBB0_11
; %bb.10:
	v_mov_b32_e32 v13, 0
	v_lshl_add_u64 v[20:21], v[12:13], 3, v[14:15]
	v_add_co_u32_e32 v26, vcc, 0x1000, v20
	s_nop 1
	v_addc_co_u32_e32 v27, vcc, 0, v21, vcc
	global_load_dwordx2 v[24:25], v[26:27], off offset:1448
	global_load_dwordx2 v[22:23], v[20:21], off offset:3024
	;; [unrolled: 1-line block ×3, first 2 shown]
	global_load_dwordx2 v[40:41], v[20:21], off
	global_load_dwordx2 v[42:43], v[20:21], off offset:504
	global_load_dwordx2 v[38:39], v[20:21], off offset:1008
	;; [unrolled: 1-line block ×11, first 2 shown]
	s_waitcnt vmcnt(11)
	v_mov_b32_e32 v20, v41
	s_waitcnt vmcnt(10)
	v_mov_b32_e32 v32, v43
	;; [unrolled: 2-line block ×5, first 2 shown]
.LBB0_11:
	s_or_b64 exec, exec, s[2:3]
	s_waitcnt vmcnt(4)
	v_pk_add_f32 v[44:45], v[18:19], v[16:17]
	v_pk_add_f32 v[50:51], v[22:23], v[24:25]
	v_mul_f32_e32 v47, 0.5, v44
	v_mul_f32_e32 v53, 0.5, v50
	v_mov_b32_e32 v46, v18
	v_mov_b32_e32 v52, v22
	v_pk_add_f32 v[48:49], v[18:19], v[16:17] neg_lo:[0,1] neg_hi:[0,1]
	v_pk_add_f32 v[54:55], v[22:23], v[24:25] neg_lo:[0,1] neg_hi:[0,1]
	v_pk_add_f32 v[46:47], v[40:41], v[46:47] op_sel_hi:[0,1] neg_lo:[0,1] neg_hi:[0,1]
	v_pk_add_f32 v[40:41], v[40:41], v[18:19]
	v_pk_add_f32 v[52:53], v[42:43], v[52:53] op_sel_hi:[0,1] neg_lo:[0,1] neg_hi:[0,1]
	v_pk_add_f32 v[42:43], v[42:43], v[22:23]
	v_mad_u32_u24 v13, v12, 12, 0
	v_mov_b32_e32 v41, v47
	v_fmac_f32_e32 v47, 0xbf5db3d7, v49
	v_mov_b32_e32 v43, v53
	v_fmac_f32_e32 v53, 0xbf5db3d7, v55
	s_waitcnt vmcnt(2)
	v_pk_add_f32 v[56:57], v[6:7], v[10:11]
	ds_write2_b32 v13, v47, v53 offset0:2 offset1:191
	s_waitcnt vmcnt(1)
	v_pk_add_f32 v[46:47], v[4:5], v[8:9]
	v_mul_f32_e32 v59, 0.5, v56
	v_mov_b32_e32 v58, v6
	v_mul_f32_e32 v61, 0.5, v46
	v_mov_b32_e32 v60, v8
	v_pk_add_f32 v[52:53], v[6:7], v[10:11] neg_lo:[0,1] neg_hi:[0,1]
	v_pk_add_f32 v[58:59], v[38:39], v[58:59] op_sel_hi:[0,1] neg_lo:[0,1] neg_hi:[0,1]
	v_pk_add_f32 v[38:39], v[38:39], v[6:7]
	v_pk_add_f32 v[60:61], v[36:37], v[60:61] op_sel_hi:[0,1] neg_lo:[0,1] neg_hi:[0,1]
	v_pk_add_f32 v[36:37], v[36:37], v[8:9]
	v_pk_add_f32 v[62:63], v[8:9], v[4:5] neg_lo:[0,1] neg_hi:[0,1]
	v_mov_b32_e32 v39, v59
	v_fmac_f32_e32 v59, 0xbf5db3d7, v53
	v_mov_b32_e32 v37, v61
	v_fmac_f32_e32 v61, 0xbf5db3d7, v63
	v_add_u32_e32 v50, 0x500, v13
	ds_write2_b32 v50, v59, v61 offset0:60 offset1:249
	v_mul_f32_e32 v59, 0x3f5db3d7, v49
	v_mov_b32_e32 v58, v16
	v_pk_add_f32 v[40:41], v[40:41], v[58:59]
	ds_write2_b32 v13, v40, v41 offset1:1
	v_mul_f32_e32 v41, 0x3f5db3d7, v55
	v_mov_b32_e32 v40, v24
	v_pk_add_f32 v[40:41], v[40:41], v[42:43]
	v_mul_f32_e32 v43, 0x3f5db3d7, v53
	v_mov_b32_e32 v42, v10
	v_pk_add_f32 v[38:39], v[42:43], v[38:39]
	v_add_u32_e32 v8, 0x5e8, v13
	ds_write2_b32 v13, v40, v41 offset0:189 offset1:190
	v_mul_f32_e32 v41, 0x3f5db3d7, v63
	ds_write2_b32 v8, v38, v39 offset1:1
	s_waitcnt vmcnt(0)
	v_pk_add_f32 v[38:39], v[0:1], v[2:3]
	v_mov_b32_e32 v40, v4
	v_pk_add_f32 v[36:37], v[40:41], v[36:37]
	v_mul_f32_e32 v41, 0.5, v38
	v_add_u32_e32 v38, 0x8dc, v13
	v_mov_b32_e32 v40, v2
	ds_write2_b32 v38, v36, v37 offset1:1
	v_pk_add_f32 v[36:37], v[2:3], v[0:1] neg_lo:[0,1] neg_hi:[0,1]
	v_pk_add_f32 v[40:41], v[34:35], v[40:41] op_sel_hi:[0,1] neg_lo:[0,1] neg_hi:[0,1]
	v_pk_add_f32 v[34:35], v[34:35], v[2:3]
	v_mul_f32_e32 v43, 0x3f5db3d7, v37
	v_mov_b32_e32 v35, v41
	v_mov_b32_e32 v42, v0
	v_pk_add_f32 v[34:35], v[42:43], v[34:35]
	v_add_u32_e32 v49, 0xbd0, v13
	v_lshlrev_b32_e32 v0, 3, v12
	ds_write2_b32 v49, v34, v35 offset1:1
	v_mul_f32_e32 v35, 0.5, v45
	v_fmac_f32_e32 v41, 0xbf5db3d7, v37
	v_sub_u32_e32 v60, v13, v0
	v_mov_b32_e32 v34, v19
	v_mov_b32_e32 v0, v19
	ds_write_b32 v13, v41 offset:3032
	v_mul_f32_e32 v41, 0x3f5db3d7, v48
	v_pk_add_f32 v[18:19], v[20:21], v[0:1] op_sel_hi:[0,1]
	v_pk_add_f32 v[34:35], v[20:21], v[34:35] op_sel_hi:[0,1] neg_lo:[0,1] neg_hi:[0,1]
	v_mov_b32_e32 v40, v17
	v_mov_b32_e32 v0, v17
	v_pk_add_f32 v[42:43], v[18:19], v[0:1] op_sel_hi:[1,0]
	v_pk_add_f32 v[40:41], v[34:35], v[40:41] neg_lo:[0,1] neg_hi:[0,1]
	s_waitcnt lgkmcnt(0)
	; wave barrier
	s_waitcnt lgkmcnt(0)
	v_add_u32_e32 v6, 0x200, v60
	v_add_u32_e32 v27, 0x800, v60
	;; [unrolled: 1-line block ×5, first 2 shown]
	ds_read_b32 v53, v60 offset:3528
	ds_read2_b32 v[20:21], v60 offset1:63
	ds_read2_b32 v[16:17], v6 offset0:124 offset1:187
	ds_read2_b32 v[44:45], v27 offset0:118 offset1:181
	;; [unrolled: 1-line block ×6, first 2 shown]
	s_waitcnt lgkmcnt(0)
	; wave barrier
	s_waitcnt lgkmcnt(0)
	ds_write2_b32 v13, v42, v41 offset1:1
	v_mul_f32_e32 v41, 0.5, v51
	v_mov_b32_e32 v40, v23
	v_mov_b32_e32 v0, v23
	v_pk_add_f32 v[22:23], v[32:33], v[0:1] op_sel_hi:[0,1]
	v_pk_add_f32 v[32:33], v[32:33], v[40:41] op_sel_hi:[0,1] neg_lo:[0,1] neg_hi:[0,1]
	v_mov_b32_e32 v0, v25
	v_mov_b32_e32 v24, v25
	v_mul_f32_e32 v25, 0x3f5db3d7, v54
	v_pk_add_f32 v[22:23], v[22:23], v[0:1] op_sel_hi:[1,0]
	v_pk_add_f32 v[24:25], v[32:33], v[24:25] neg_lo:[0,1] neg_hi:[0,1]
	ds_write2_b32 v13, v22, v25 offset0:189 offset1:190
	v_fmac_f32_e32 v35, 0x3f5db3d7, v48
	v_fmac_f32_e32 v33, 0x3f5db3d7, v54
	v_mul_f32_e32 v23, 0.5, v57
	v_mov_b32_e32 v22, v7
	v_mov_b32_e32 v0, v7
	ds_write2_b32 v13, v35, v33 offset0:2 offset1:191
	v_mul_f32_e32 v25, 0x3f5db3d7, v52
	v_pk_add_f32 v[34:35], v[30:31], v[0:1] op_sel_hi:[0,1]
	v_pk_add_f32 v[22:23], v[30:31], v[22:23] op_sel_hi:[0,1] neg_lo:[0,1] neg_hi:[0,1]
	v_mov_b32_e32 v24, v11
	v_mov_b32_e32 v0, v11
	v_mul_f32_e32 v33, 0.5, v47
	v_pk_add_f32 v[10:11], v[34:35], v[0:1] op_sel_hi:[1,0]
	v_pk_add_f32 v[24:25], v[22:23], v[24:25] neg_lo:[0,1] neg_hi:[0,1]
	v_mov_b32_e32 v0, v9
	v_mov_b32_e32 v32, v9
	v_mul_f32_e32 v41, 0x3f5db3d7, v62
	ds_write2_b32 v8, v10, v25 offset1:1
	v_pk_add_f32 v[8:9], v[28:29], v[0:1] op_sel_hi:[0,1]
	v_pk_add_f32 v[24:25], v[28:29], v[32:33] op_sel_hi:[0,1] neg_lo:[0,1] neg_hi:[0,1]
	v_mov_b32_e32 v0, v5
	v_mov_b32_e32 v40, v5
	v_pk_add_f32 v[4:5], v[8:9], v[0:1] op_sel_hi:[1,0]
	v_pk_add_f32 v[8:9], v[24:25], v[40:41] neg_lo:[0,1] neg_hi:[0,1]
	v_mul_f32_e32 v39, 0.5, v39
	v_fmac_f32_e32 v23, 0x3f5db3d7, v52
	v_fmac_f32_e32 v25, 0x3f5db3d7, v62
	ds_write2_b32 v38, v4, v9 offset1:1
	ds_write2_b32 v50, v23, v25 offset0:60 offset1:249
	v_mov_b32_e32 v0, v3
	v_mov_b32_e32 v38, v3
	v_mul_f32_e32 v11, 0x3f5db3d7, v36
	v_pk_add_f32 v[2:3], v[26:27], v[0:1] op_sel_hi:[0,1]
	v_pk_add_f32 v[4:5], v[26:27], v[38:39] op_sel_hi:[0,1] neg_lo:[0,1] neg_hi:[0,1]
	v_mov_b32_e32 v0, v1
	v_mov_b32_e32 v10, v1
	v_pk_add_f32 v[0:1], v[2:3], v[0:1] op_sel_hi:[1,0]
	v_pk_add_f32 v[2:3], v[4:5], v[10:11] neg_lo:[0,1] neg_hi:[0,1]
	s_movk_i32 s2, 0xab
	v_fmac_f32_e32 v5, 0x3f5db3d7, v36
	ds_write2_b32 v49, v0, v3 offset1:1
	ds_write_b32 v13, v5 offset:3032
	v_mul_lo_u16_sdwa v0, v12, s2 dst_sel:DWORD dst_unused:UNUSED_PAD src0_sel:BYTE_0 src1_sel:DWORD
	v_lshrrev_b16_e32 v7, 9, v0
	v_add_u32_e32 v13, 63, v12
	v_mul_lo_u16_e32 v0, 3, v7
	v_mul_lo_u16_sdwa v4, v13, s2 dst_sel:DWORD dst_unused:UNUSED_PAD src0_sel:BYTE_0 src1_sel:DWORD
	v_sub_u16_e32 v26, v12, v0
	v_mov_b32_e32 v28, 4
	v_lshrrev_b16_e32 v30, 9, v4
	v_lshlrev_b32_sdwa v0, v28, v26 dst_sel:DWORD dst_unused:UNUSED_PAD src0_sel:DWORD src1_sel:BYTE_0
	v_mul_lo_u16_e32 v4, 3, v30
	s_waitcnt lgkmcnt(0)
	; wave barrier
	s_waitcnt lgkmcnt(0)
	global_load_dwordx4 v[0:3], v0, s[4:5]
	v_sub_u16_e32 v47, v13, v4
	v_lshlrev_b32_sdwa v4, v28, v47 dst_sel:DWORD dst_unused:UNUSED_PAD src0_sel:DWORD src1_sel:BYTE_0
	global_load_dwordx4 v[8:11], v4, s[4:5]
	v_add_u32_e32 v66, 0x7e, v12
	v_mul_lo_u16_sdwa v4, v66, s2 dst_sel:DWORD dst_unused:UNUSED_PAD src0_sel:BYTE_0 src1_sel:DWORD
	v_lshrrev_b16_e32 v48, 9, v4
	v_mul_lo_u16_e32 v4, 3, v48
	v_sub_u16_e32 v49, v66, v4
	v_lshlrev_b32_sdwa v4, v28, v49 dst_sel:DWORD dst_unused:UNUSED_PAD src0_sel:DWORD src1_sel:BYTE_0
	global_load_dwordx4 v[22:25], v4, s[4:5]
	v_add_u16_e32 v50, 0xbd, v12
	v_mul_lo_u16_sdwa v4, v50, s2 dst_sel:DWORD dst_unused:UNUSED_PAD src0_sel:BYTE_0 src1_sel:DWORD
	v_lshrrev_b16_e32 v51, 9, v4
	v_mul_lo_u16_e32 v4, 3, v51
	v_sub_u16_e32 v52, v50, v4
	v_lshlrev_b32_sdwa v4, v28, v52 dst_sel:DWORD dst_unused:UNUSED_PAD src0_sel:DWORD src1_sel:BYTE_0
	v_add_u32_e32 v54, 0xfc, v12
	s_mov_b32 s2, 0xaaab
	global_load_dwordx4 v[32:35], v4, s[4:5]
	v_mul_u32_u24_sdwa v4, v54, s2 dst_sel:DWORD dst_unused:UNUSED_PAD src0_sel:WORD_0 src1_sel:DWORD
	v_lshrrev_b32_e32 v55, 17, v4
	v_mul_lo_u16_e32 v4, 3, v55
	v_sub_u16_e32 v56, v54, v4
	v_lshlrev_b32_e32 v4, 4, v56
	global_load_dwordx4 v[36:39], v4, s[4:5]
	ds_read2_b32 v[40:41], v6 offset0:124 offset1:187
	ds_read2_b32 v[4:5], v27 offset0:118 offset1:181
	;; [unrolled: 1-line block ×3, first 2 shown]
	v_mov_b32_e32 v63, 2
	s_mov_b32 s2, 0xe38f
	v_cmp_gt_u32_e32 vcc, 9, v12
	s_waitcnt vmcnt(4) lgkmcnt(2)
	v_mul_f32_e32 v57, v41, v1
	v_fma_f32 v57, v17, v0, -v57
	v_mul_f32_e32 v17, v17, v1
	v_fmac_f32_e32 v17, v41, v0
	s_waitcnt lgkmcnt(1)
	v_mul_f32_e32 v0, v4, v3
	v_fma_f32 v41, v44, v2, -v0
	ds_read2_b32 v[0:1], v31 offset0:116 offset1:179
	v_mul_f32_e32 v44, v44, v3
	v_fmac_f32_e32 v44, v4, v2
	s_waitcnt vmcnt(3) lgkmcnt(1)
	v_mul_f32_e32 v2, v42, v9
	v_fma_f32 v4, v58, v8, -v2
	v_mul_f32_e32 v2, v5, v11
	v_fma_f32 v61, v45, v10, -v2
	v_mul_f32_e32 v45, v45, v11
	s_waitcnt vmcnt(2)
	v_mul_f32_e32 v2, v43, v23
	v_fmac_f32_e32 v45, v5, v10
	v_fma_f32 v5, v59, v22, -v2
	v_mul_f32_e32 v23, v59, v23
	s_waitcnt lgkmcnt(0)
	v_mul_f32_e32 v2, v0, v25
	v_fmac_f32_e32 v23, v43, v22
	v_fma_f32 v22, v64, v24, -v2
	ds_read2_b32 v[2:3], v46 offset0:120 offset1:183
	v_mul_f32_e32 v25, v64, v25
	v_fmac_f32_e32 v25, v0, v24
	s_waitcnt vmcnt(1)
	v_mul_f32_e32 v24, v65, v35
	v_mul_f32_e32 v58, v58, v9
	;; [unrolled: 1-line block ×3, first 2 shown]
	v_fmac_f32_e32 v24, v1, v34
	s_waitcnt lgkmcnt(0)
	v_mul_f32_e32 v1, v2, v33
	v_mul_f32_e32 v33, v68, v33
	v_fmac_f32_e32 v58, v42, v8
	v_fmac_f32_e32 v33, v2, v32
	ds_read2_b32 v[8:9], v60 offset1:63
	ds_read_b32 v2, v60 offset:3528
	v_fma_f32 v0, v65, v34, -v0
	s_waitcnt vmcnt(0)
	v_mul_f32_e32 v10, v3, v37
	v_mul_f32_e32 v34, v69, v37
	v_fma_f32 v1, v68, v32, -v1
	v_fma_f32 v32, v69, v36, -v10
	v_fmac_f32_e32 v34, v3, v36
	v_mul_f32_e32 v35, v53, v39
	v_add_f32_e32 v36, v57, v41
	s_waitcnt lgkmcnt(0)
	v_mul_f32_e32 v3, v2, v39
	v_fmac_f32_e32 v35, v2, v38
	v_add_f32_e32 v2, v20, v57
	v_fma_f32 v20, -0.5, v36, v20
	v_sub_f32_e32 v36, v17, v44
	v_fmamk_f32 v37, v36, 0x3f5db3d7, v20
	v_fmac_f32_e32 v20, 0xbf5db3d7, v36
	v_add_f32_e32 v36, v8, v17
	v_add_f32_e32 v17, v17, v44
	ds_read2_b32 v[10:11], v60 offset0:126 offset1:189
	v_fma_f32 v8, -0.5, v17, v8
	v_sub_f32_e32 v17, v57, v41
	v_add_f32_e32 v39, v4, v61
	v_fma_f32 v3, v53, v38, -v3
	v_fmamk_f32 v38, v17, 0xbf5db3d7, v8
	v_fmac_f32_e32 v8, 0x3f5db3d7, v17
	v_add_f32_e32 v17, v21, v4
	v_fmac_f32_e32 v21, -0.5, v39
	v_sub_f32_e32 v39, v58, v45
	v_add_f32_e32 v42, v58, v45
	v_add_f32_e32 v2, v2, v41
	v_fmamk_f32 v41, v39, 0x3f5db3d7, v21
	v_fmac_f32_e32 v21, 0xbf5db3d7, v39
	v_add_f32_e32 v39, v9, v58
	v_fmac_f32_e32 v9, -0.5, v42
	v_sub_f32_e32 v4, v4, v61
	v_fmamk_f32 v53, v4, 0xbf5db3d7, v9
	v_fmac_f32_e32 v9, 0x3f5db3d7, v4
	v_add_f32_e32 v4, v5, v22
	v_fma_f32 v4, -0.5, v4, v18
	v_sub_f32_e32 v42, v23, v25
	v_fmamk_f32 v43, v42, 0x3f5db3d7, v4
	v_fmac_f32_e32 v4, 0xbf5db3d7, v42
	s_waitcnt lgkmcnt(0)
	v_add_f32_e32 v42, v10, v23
	v_add_f32_e32 v23, v23, v25
	;; [unrolled: 1-line block ×3, first 2 shown]
	v_fma_f32 v10, -0.5, v23, v10
	v_sub_f32_e32 v5, v5, v22
	v_add_f32_e32 v23, v1, v0
	v_add_f32_e32 v18, v18, v22
	v_fmamk_f32 v22, v5, 0xbf5db3d7, v10
	v_fmac_f32_e32 v10, 0x3f5db3d7, v5
	v_add_f32_e32 v5, v19, v1
	v_fmac_f32_e32 v19, -0.5, v23
	v_sub_f32_e32 v23, v33, v24
	v_add_f32_e32 v57, v42, v25
	v_fmamk_f32 v25, v23, 0x3f5db3d7, v19
	v_fmac_f32_e32 v19, 0xbf5db3d7, v23
	v_add_f32_e32 v23, v11, v33
	v_add_f32_e32 v23, v23, v24
	;; [unrolled: 1-line block ×3, first 2 shown]
	v_fmac_f32_e32 v11, -0.5, v24
	v_add_f32_e32 v5, v5, v0
	v_sub_f32_e32 v0, v1, v0
	v_add_f32_e32 v1, v32, v3
	v_fmamk_f32 v33, v0, 0xbf5db3d7, v11
	v_fmac_f32_e32 v11, 0x3f5db3d7, v0
	v_add_f32_e32 v0, v16, v32
	v_fmac_f32_e32 v16, -0.5, v1
	v_sub_f32_e32 v1, v34, v35
	v_fmamk_f32 v24, v1, 0x3f5db3d7, v16
	v_fmac_f32_e32 v16, 0xbf5db3d7, v1
	v_add_f32_e32 v1, v40, v34
	v_add_f32_e32 v58, v1, v35
	;; [unrolled: 1-line block ×3, first 2 shown]
	v_fmac_f32_e32 v40, -0.5, v1
	v_sub_f32_e32 v1, v32, v3
	v_add_f32_e32 v0, v0, v3
	v_fmamk_f32 v32, v1, 0xbf5db3d7, v40
	v_fmac_f32_e32 v40, 0x3f5db3d7, v1
	v_mul_u32_u24_e32 v1, 36, v7
	v_lshlrev_b32_sdwa v3, v63, v26 dst_sel:DWORD dst_unused:UNUSED_PAD src0_sel:DWORD src1_sel:BYTE_0
	v_add3_u32 v7, 0, v1, v3
	s_waitcnt lgkmcnt(0)
	; wave barrier
	ds_write2_b32 v7, v2, v37 offset1:3
	ds_write_b32 v7, v20 offset:24
	v_mul_u32_u24_e32 v1, 36, v30
	v_lshlrev_b32_sdwa v2, v63, v47 dst_sel:DWORD dst_unused:UNUSED_PAD src0_sel:DWORD src1_sel:BYTE_0
	v_add_f32_e32 v17, v17, v61
	v_add3_u32 v20, 0, v1, v2
	v_mul_u32_u24_e32 v1, 36, v48
	v_lshlrev_b32_sdwa v2, v63, v49 dst_sel:DWORD dst_unused:UNUSED_PAD src0_sel:DWORD src1_sel:BYTE_0
	ds_write2_b32 v20, v17, v41 offset1:3
	ds_write_b32 v20, v21 offset:24
	v_add3_u32 v17, 0, v1, v2
	v_mul_u32_u24_e32 v1, 36, v51
	v_lshlrev_b32_sdwa v2, v63, v52 dst_sel:DWORD dst_unused:UNUSED_PAD src0_sel:DWORD src1_sel:BYTE_0
	ds_write2_b32 v17, v18, v43 offset1:3
	ds_write_b32 v17, v4 offset:24
	v_add3_u32 v18, 0, v1, v2
	v_mul_u32_u24_e32 v1, 36, v55
	v_lshlrev_b32_e32 v2, 2, v56
	v_add_f32_e32 v36, v36, v44
	ds_write2_b32 v18, v5, v25 offset1:3
	ds_write_b32 v18, v19 offset:24
	v_add3_u32 v19, 0, v1, v2
	v_add_f32_e32 v39, v39, v45
	ds_write2_b32 v19, v0, v24 offset1:3
	ds_write_b32 v19, v16 offset:24
	s_waitcnt lgkmcnt(0)
	; wave barrier
	s_waitcnt lgkmcnt(0)
	ds_read2_b32 v[4:5], v60 offset1:63
	ds_read2_b32 v[0:1], v6 offset0:124 offset1:187
	ds_read2_b32 v[24:25], v27 offset0:118 offset1:181
	;; [unrolled: 1-line block ×6, first 2 shown]
	ds_read_b32 v26, v60 offset:3528
	s_waitcnt lgkmcnt(0)
	; wave barrier
	s_waitcnt lgkmcnt(0)
	ds_write2_b32 v7, v36, v38 offset1:3
	ds_write_b32 v7, v8 offset:24
	ds_write2_b32 v20, v39, v53 offset1:3
	ds_write_b32 v20, v9 offset:24
	ds_write2_b32 v17, v57, v22 offset1:3
	ds_write_b32 v17, v10 offset:24
	ds_write2_b32 v18, v23, v33 offset1:3
	ds_write_b32 v18, v11 offset:24
	ds_write2_b32 v19, v58, v32 offset1:3
	ds_write_b32 v19, v40 offset:24
	v_mov_b32_e32 v7, 57
	v_mul_lo_u16_sdwa v8, v12, v7 dst_sel:DWORD dst_unused:UNUSED_PAD src0_sel:BYTE_0 src1_sel:DWORD
	v_lshrrev_b16_e32 v30, 9, v8
	v_mul_lo_u16_e32 v8, 9, v30
	v_sub_u16_e32 v47, v12, v8
	v_mul_lo_u16_sdwa v16, v13, v7 dst_sel:DWORD dst_unused:UNUSED_PAD src0_sel:BYTE_0 src1_sel:DWORD
	v_lshlrev_b32_sdwa v8, v28, v47 dst_sel:DWORD dst_unused:UNUSED_PAD src0_sel:DWORD src1_sel:BYTE_0
	v_lshrrev_b16_e32 v55, 9, v16
	s_waitcnt lgkmcnt(0)
	; wave barrier
	s_waitcnt lgkmcnt(0)
	global_load_dwordx4 v[8:11], v8, s[4:5] offset:48
	v_mul_lo_u16_e32 v16, 9, v55
	v_sub_u16_e32 v56, v13, v16
	v_lshlrev_b32_sdwa v16, v28, v56 dst_sel:DWORD dst_unused:UNUSED_PAD src0_sel:DWORD src1_sel:BYTE_0
	global_load_dwordx4 v[16:19], v16, s[4:5] offset:48
	v_mul_lo_u16_sdwa v20, v66, v7 dst_sel:DWORD dst_unused:UNUSED_PAD src0_sel:BYTE_0 src1_sel:DWORD
	v_lshrrev_b16_e32 v57, 9, v20
	v_mul_lo_u16_e32 v20, 9, v57
	v_sub_u16_e32 v58, v66, v20
	v_lshlrev_b32_sdwa v20, v28, v58 dst_sel:DWORD dst_unused:UNUSED_PAD src0_sel:DWORD src1_sel:BYTE_0
	global_load_dwordx4 v[20:23], v20, s[4:5] offset:48
	v_mul_lo_u16_sdwa v7, v50, v7 dst_sel:DWORD dst_unused:UNUSED_PAD src0_sel:BYTE_0 src1_sel:DWORD
	v_lshrrev_b16_e32 v7, 9, v7
	v_mul_lo_u16_e32 v32, 9, v7
	v_sub_u16_e32 v59, v50, v32
	v_lshlrev_b32_sdwa v28, v28, v59 dst_sel:DWORD dst_unused:UNUSED_PAD src0_sel:DWORD src1_sel:BYTE_0
	global_load_dwordx4 v[32:35], v28, s[4:5] offset:48
	v_mul_u32_u24_sdwa v28, v54, s2 dst_sel:DWORD dst_unused:UNUSED_PAD src0_sel:WORD_0 src1_sel:DWORD
	v_lshrrev_b32_e32 v28, 19, v28
	v_mul_lo_u16_e32 v36, 9, v28
	v_sub_u16_e32 v54, v54, v36
	v_lshlrev_b32_e32 v36, 4, v54
	global_load_dwordx4 v[36:39], v36, s[4:5] offset:48
	ds_read2_b32 v[40:41], v6 offset0:124 offset1:187
	ds_read2_b32 v[50:51], v27 offset0:118 offset1:181
	;; [unrolled: 1-line block ×3, first 2 shown]
	s_mov_b32 s2, 0x3e9e377a
	s_mov_b32 s3, 0x3f167918
	s_waitcnt vmcnt(4) lgkmcnt(2)
	v_mul_f32_e32 v61, v41, v9
	v_fma_f32 v61, v1, v8, -v61
	v_mul_f32_e32 v1, v1, v9
	v_fmac_f32_e32 v1, v41, v8
	s_waitcnt lgkmcnt(1)
	v_mul_f32_e32 v8, v50, v11
	v_fma_f32 v41, v24, v10, -v8
	v_mul_f32_e32 v24, v24, v11
	s_waitcnt vmcnt(3) lgkmcnt(0)
	v_mul_f32_e32 v8, v52, v17
	v_fmac_f32_e32 v24, v50, v10
	v_fma_f32 v50, v42, v16, -v8
	v_mul_f32_e32 v42, v42, v17
	v_mul_f32_e32 v8, v51, v19
	v_fmac_f32_e32 v42, v52, v16
	v_fma_f32 v52, v25, v18, -v8
	ds_read2_b32 v[8:9], v31 offset0:116 offset1:179
	v_mul_f32_e32 v19, v25, v19
	s_waitcnt vmcnt(2)
	v_mul_f32_e32 v10, v53, v21
	v_fmac_f32_e32 v19, v51, v18
	v_fma_f32 v18, v43, v20, -v10
	v_mul_f32_e32 v21, v43, v21
	s_waitcnt lgkmcnt(0)
	v_mul_f32_e32 v10, v8, v23
	v_fmac_f32_e32 v21, v53, v20
	v_fma_f32 v20, v44, v22, -v10
	ds_read2_b32 v[10:11], v46 offset0:120 offset1:183
	v_mul_f32_e32 v23, v44, v23
	v_fmac_f32_e32 v23, v8, v22
	s_waitcnt vmcnt(1)
	v_mul_f32_e32 v8, v9, v35
	v_fma_f32 v22, v45, v34, -v8
	v_mul_f32_e32 v25, v45, v35
	s_waitcnt lgkmcnt(0)
	v_mul_f32_e32 v8, v10, v33
	v_mul_f32_e32 v33, v48, v33
	ds_read2_b32 v[16:17], v60 offset1:63
	v_fmac_f32_e32 v25, v9, v34
	v_fma_f32 v34, v48, v32, -v8
	v_fmac_f32_e32 v33, v10, v32
	ds_read2_b32 v[8:9], v60 offset0:126 offset1:189
	ds_read_b32 v10, v60 offset:3528
	s_waitcnt vmcnt(0)
	v_mul_f32_e32 v35, v49, v37
	v_mul_f32_e32 v32, v11, v37
	v_fmac_f32_e32 v35, v11, v36
	v_fma_f32 v32, v49, v36, -v32
	s_waitcnt lgkmcnt(0)
	v_mul_f32_e32 v11, v10, v39
	v_fma_f32 v11, v26, v38, -v11
	v_mul_f32_e32 v26, v26, v39
	v_add_f32_e32 v36, v61, v41
	v_fmac_f32_e32 v26, v10, v38
	v_add_f32_e32 v10, v4, v61
	v_fma_f32 v4, -0.5, v36, v4
	v_sub_f32_e32 v36, v1, v24
	v_fmamk_f32 v37, v36, 0x3f5db3d7, v4
	v_fmac_f32_e32 v4, 0xbf5db3d7, v36
	v_add_f32_e32 v36, v16, v1
	v_add_f32_e32 v1, v1, v24
	;; [unrolled: 1-line block ×3, first 2 shown]
	v_fma_f32 v1, -0.5, v1, v16
	v_sub_f32_e32 v16, v61, v41
	v_add_f32_e32 v24, v50, v52
	v_fmamk_f32 v38, v16, 0xbf5db3d7, v1
	v_fmac_f32_e32 v1, 0x3f5db3d7, v16
	v_add_f32_e32 v16, v5, v50
	v_fmac_f32_e32 v5, -0.5, v24
	v_sub_f32_e32 v24, v42, v19
	v_fmamk_f32 v39, v24, 0x3f5db3d7, v5
	v_fmac_f32_e32 v5, 0xbf5db3d7, v24
	v_add_f32_e32 v24, v17, v42
	v_add_f32_e32 v10, v10, v41
	;; [unrolled: 1-line block ×4, first 2 shown]
	v_fmac_f32_e32 v17, -0.5, v19
	v_sub_f32_e32 v19, v50, v52
	v_add_f32_e32 v24, v18, v20
	v_fmamk_f32 v42, v19, 0xbf5db3d7, v17
	v_fmac_f32_e32 v17, 0x3f5db3d7, v19
	v_add_f32_e32 v19, v2, v18
	v_fma_f32 v2, -0.5, v24, v2
	v_sub_f32_e32 v24, v21, v23
	v_fmamk_f32 v43, v24, 0x3f5db3d7, v2
	v_fmac_f32_e32 v2, 0xbf5db3d7, v24
	v_add_f32_e32 v24, v8, v21
	v_add_f32_e32 v21, v21, v23
	v_fma_f32 v8, -0.5, v21, v8
	v_sub_f32_e32 v18, v18, v20
	v_add_f32_e32 v21, v34, v22
	v_add_f32_e32 v19, v19, v20
	v_add_f32_e32 v50, v24, v23
	v_fmamk_f32 v20, v18, 0xbf5db3d7, v8
	v_fmac_f32_e32 v8, 0x3f5db3d7, v18
	v_add_f32_e32 v18, v3, v34
	v_fmac_f32_e32 v3, -0.5, v21
	v_sub_f32_e32 v21, v33, v25
	v_add_f32_e32 v24, v33, v25
	v_add_f32_e32 v18, v18, v22
	v_fmamk_f32 v23, v21, 0x3f5db3d7, v3
	v_fmac_f32_e32 v3, 0xbf5db3d7, v21
	v_add_f32_e32 v21, v9, v33
	v_fmac_f32_e32 v9, -0.5, v24
	v_sub_f32_e32 v22, v34, v22
	v_add_f32_e32 v24, v32, v11
	v_fmamk_f32 v33, v22, 0xbf5db3d7, v9
	v_fmac_f32_e32 v9, 0x3f5db3d7, v22
	v_add_f32_e32 v22, v0, v32
	v_fmac_f32_e32 v0, -0.5, v24
	v_sub_f32_e32 v24, v35, v26
	v_add_f32_e32 v21, v21, v25
	v_fmamk_f32 v25, v24, 0x3f5db3d7, v0
	v_fmac_f32_e32 v0, 0xbf5db3d7, v24
	v_add_f32_e32 v24, v40, v35
	v_add_f32_e32 v34, v24, v26
	;; [unrolled: 1-line block ×4, first 2 shown]
	v_fmac_f32_e32 v40, -0.5, v24
	v_sub_f32_e32 v11, v32, v11
	v_fmamk_f32 v26, v11, 0xbf5db3d7, v40
	v_fmac_f32_e32 v40, 0x3f5db3d7, v11
	v_mul_u32_u24_e32 v11, 0x6c, v30
	v_lshlrev_b32_sdwa v24, v63, v47 dst_sel:DWORD dst_unused:UNUSED_PAD src0_sel:DWORD src1_sel:BYTE_0
	v_add3_u32 v11, 0, v11, v24
	s_waitcnt lgkmcnt(0)
	; wave barrier
	ds_write2_b32 v11, v10, v37 offset1:9
	ds_write_b32 v11, v4 offset:72
	v_mul_u32_u24_e32 v4, 0x6c, v55
	v_lshlrev_b32_sdwa v10, v63, v56 dst_sel:DWORD dst_unused:UNUSED_PAD src0_sel:DWORD src1_sel:BYTE_0
	v_add_f32_e32 v16, v16, v52
	v_add3_u32 v10, 0, v4, v10
	ds_write2_b32 v10, v16, v39 offset1:9
	ds_write_b32 v10, v5 offset:72
	v_mul_u32_u24_e32 v4, 0x6c, v57
	v_lshlrev_b32_sdwa v5, v63, v58 dst_sel:DWORD dst_unused:UNUSED_PAD src0_sel:DWORD src1_sel:BYTE_0
	v_add3_u32 v16, 0, v4, v5
	ds_write2_b32 v16, v19, v43 offset1:9
	ds_write_b32 v16, v2 offset:72
	v_mul_u32_u24_e32 v2, 0x6c, v7
	v_lshlrev_b32_sdwa v4, v63, v59 dst_sel:DWORD dst_unused:UNUSED_PAD src0_sel:DWORD src1_sel:BYTE_0
	v_add3_u32 v7, 0, v2, v4
	ds_write2_b32 v7, v18, v23 offset1:9
	ds_write_b32 v7, v3 offset:72
	v_mul_u32_u24_e32 v2, 0x6c, v28
	v_lshlrev_b32_e32 v3, 2, v54
	v_add3_u32 v18, 0, v2, v3
	ds_write2_b32 v18, v22, v25 offset1:9
	ds_write_b32 v18, v0 offset:72
	v_mov_b32_e32 v0, 19
	s_waitcnt lgkmcnt(0)
	; wave barrier
	s_waitcnt lgkmcnt(0)
	ds_read2_b32 v[4:5], v60 offset1:63
	ds_read2_b32 v[2:3], v60 offset0:126 offset1:189
	ds_read2_b32 v[24:25], v29 offset0:122 offset1:185
	;; [unrolled: 1-line block ×6, first 2 shown]
	ds_read_b32 v67, v60 offset:3528
	s_waitcnt lgkmcnt(0)
	; wave barrier
	s_waitcnt lgkmcnt(0)
	ds_write2_b32 v11, v36, v38 offset1:9
	ds_write_b32 v11, v1 offset:72
	ds_write2_b32 v10, v41, v42 offset1:9
	ds_write_b32 v10, v17 offset:72
	;; [unrolled: 2-line block ×5, first 2 shown]
	v_mul_lo_u16_sdwa v1, v12, v0 dst_sel:DWORD dst_unused:UNUSED_PAD src0_sel:BYTE_0 src1_sel:DWORD
	v_lshrrev_b16_e32 v74, 9, v1
	v_mul_lo_u16_e32 v1, 27, v74
	v_sub_u16_e32 v47, v12, v1
	v_mov_b32_e32 v1, 5
	v_lshlrev_b32_sdwa v7, v1, v47 dst_sel:DWORD dst_unused:UNUSED_PAD src0_sel:DWORD src1_sel:BYTE_0
	s_waitcnt lgkmcnt(0)
	; wave barrier
	s_waitcnt lgkmcnt(0)
	global_load_dwordx4 v[8:11], v7, s[4:5] offset:192
	global_load_dwordx4 v[16:19], v7, s[4:5] offset:208
	v_mul_lo_u16_sdwa v7, v13, v0 dst_sel:DWORD dst_unused:UNUSED_PAD src0_sel:BYTE_0 src1_sel:DWORD
	v_lshrrev_b16_e32 v75, 9, v7
	v_mul_lo_u16_e32 v7, 27, v75
	v_sub_u16_e32 v76, v13, v7
	v_lshlrev_b32_sdwa v7, v1, v76 dst_sel:DWORD dst_unused:UNUSED_PAD src0_sel:DWORD src1_sel:BYTE_0
	v_mul_lo_u16_sdwa v0, v66, v0 dst_sel:DWORD dst_unused:UNUSED_PAD src0_sel:BYTE_0 src1_sel:DWORD
	global_load_dwordx4 v[20:23], v7, s[4:5] offset:192
	global_load_dwordx4 v[32:35], v7, s[4:5] offset:208
	v_lshrrev_b16_e32 v77, 9, v0
	v_mul_lo_u16_e32 v0, 27, v77
	v_sub_u16_e32 v78, v66, v0
	v_lshlrev_b32_sdwa v0, v1, v78 dst_sel:DWORD dst_unused:UNUSED_PAD src0_sel:DWORD src1_sel:BYTE_0
	global_load_dwordx4 v[36:39], v0, s[4:5] offset:192
	global_load_dwordx4 v[40:43], v0, s[4:5] offset:208
	ds_read2_b32 v[0:1], v60 offset0:126 offset1:189
	ds_read2_b32 v[54:55], v29 offset0:122 offset1:185
	;; [unrolled: 1-line block ×4, first 2 shown]
	s_waitcnt vmcnt(5)
	v_mul_f32_e32 v51, v3, v9
	s_waitcnt lgkmcnt(3)
	v_mul_f32_e32 v7, v1, v9
	v_fmac_f32_e32 v51, v1, v8
	s_waitcnt lgkmcnt(2)
	v_mul_f32_e32 v1, v54, v11
	v_mul_f32_e32 v53, v24, v11
	v_fma_f32 v59, v24, v10, -v1
	v_fmac_f32_e32 v53, v54, v10
	s_waitcnt vmcnt(4) lgkmcnt(1)
	v_mul_f32_e32 v1, v71, v17
	v_mul_f32_e32 v54, v45, v17
	v_fma_f32 v58, v3, v8, -v7
	v_fma_f32 v61, v45, v16, -v1
	v_fmac_f32_e32 v54, v71, v16
	ds_read2_b32 v[6:7], v6 offset0:124 offset1:187
	ds_read2_b32 v[16:17], v27 offset0:118 offset1:181
	s_waitcnt lgkmcnt(2)
	v_mul_f32_e32 v1, v72, v19
	v_fma_f32 v62, v48, v18, -v1
	s_waitcnt vmcnt(3)
	v_mul_f32_e32 v1, v55, v23
	v_mul_f32_e32 v28, v64, v21
	v_fma_f32 v50, v25, v22, -v1
	s_waitcnt lgkmcnt(1)
	v_mul_f32_e32 v1, v6, v21
	v_fmac_f32_e32 v28, v6, v20
	ds_read_b32 v6, v60 offset:3528
	s_waitcnt vmcnt(1)
	v_mul_f32_e32 v3, v70, v39
	v_mul_f32_e32 v26, v25, v23
	v_fma_f32 v52, v64, v20, -v1
	v_mul_f32_e32 v1, v73, v35
	v_fma_f32 v10, v44, v38, -v3
	s_waitcnt vmcnt(0) lgkmcnt(1)
	v_mul_f32_e32 v3, v17, v41
	v_fmac_f32_e32 v26, v55, v22
	v_fma_f32 v55, v49, v34, -v1
	v_mul_f32_e32 v1, v16, v33
	v_lshlrev_b32_sdwa v22, v63, v47 dst_sel:DWORD dst_unused:UNUSED_PAD src0_sel:DWORD src1_sel:BYTE_0
	v_fma_f32 v47, v69, v40, -v3
	s_waitcnt lgkmcnt(0)
	v_mul_f32_e32 v3, v6, v43
	v_mul_f32_e32 v57, v48, v19
	;; [unrolled: 1-line block ×3, first 2 shown]
	v_fma_f32 v56, v68, v32, -v1
	v_mul_f32_e32 v1, v7, v37
	v_fma_f32 v49, v67, v42, -v3
	v_mul_f32_e32 v3, v67, v43
	v_fmac_f32_e32 v57, v72, v18
	v_fma_f32 v8, v65, v36, -v1
	v_mul_f32_e32 v1, v65, v37
	v_fmac_f32_e32 v3, v6, v42
	v_add_f32_e32 v6, v59, v61
	v_mul_f32_e32 v48, v68, v33
	v_fmac_f32_e32 v1, v7, v36
	v_mul_f32_e32 v7, v69, v41
	v_fma_f32 v33, -0.5, v6, v4
	v_sub_f32_e32 v6, v51, v57
	v_fmac_f32_e32 v30, v73, v34
	v_fmac_f32_e32 v48, v16, v32
	v_fmac_f32_e32 v7, v17, v40
	v_fmamk_f32 v34, v6, 0x3f737871, v33
	v_sub_f32_e32 v16, v53, v54
	v_sub_f32_e32 v17, v58, v59
	v_sub_f32_e32 v18, v62, v61
	v_fmac_f32_e32 v33, 0xbf737871, v6
	v_fmac_f32_e32 v34, 0x3f167918, v16
	v_add_f32_e32 v17, v17, v18
	v_fmac_f32_e32 v33, 0xbf167918, v16
	v_fmac_f32_e32 v34, 0x3e9e377a, v17
	;; [unrolled: 1-line block ×3, first 2 shown]
	v_add_f32_e32 v17, v58, v62
	v_fma_f32 v35, -0.5, v17, v4
	v_fmamk_f32 v36, v16, 0xbf737871, v35
	v_sub_f32_e32 v17, v59, v58
	v_sub_f32_e32 v18, v61, v62
	v_fmac_f32_e32 v35, 0x3f737871, v16
	v_mul_f32_e32 v9, v70, v38
	v_mul_f32_e32 v11, v44, v39
	v_fmac_f32_e32 v36, 0x3f167918, v6
	v_add_f32_e32 v17, v17, v18
	v_fmac_f32_e32 v35, 0xbf167918, v6
	v_add_f32_e32 v6, v10, v47
	v_fmac_f32_e32 v36, 0x3e9e377a, v17
	v_fmac_f32_e32 v35, 0x3e9e377a, v17
	v_fma_f32 v38, -0.5, v6, v2
	v_sub_f32_e32 v6, v49, v47
	v_pk_add_f32 v[16:17], v[8:9], v[10:11] neg_lo:[0,1] neg_hi:[0,1]
	v_pk_add_f32 v[20:21], v[8:9], v[10:11]
	v_add_f32_e32 v4, v4, v58
	v_pk_add_f32 v[16:17], v[16:17], v[6:7]
	v_pk_add_f32 v[18:19], v[20:21], v[6:7] neg_lo:[0,1] neg_hi:[0,1]
	v_add_f32_e32 v6, v8, v49
	v_add_f32_e32 v4, v4, v59
	;; [unrolled: 1-line block ×3, first 2 shown]
	v_fmac_f32_e32 v2, -0.5, v6
	v_mul_u32_u24_e32 v6, 0x21c, v74
	v_add_f32_e32 v4, v4, v61
	v_add3_u32 v6, 0, v6, v22
	v_add_f32_e32 v4, v4, v62
	ds_read2_b32 v[24:25], v60 offset1:63
	s_waitcnt lgkmcnt(0)
	; wave barrier
	s_waitcnt lgkmcnt(0)
	ds_write2_b32 v6, v4, v34 offset1:27
	v_add_f32_e32 v4, v50, v56
	v_mov_b32_e32 v17, v19
	v_fmamk_f32 v9, v19, 0xbf737871, v2
	v_fmac_f32_e32 v2, 0x3f737871, v19
	v_fma_f32 v11, -0.5, v4, v5
	v_sub_f32_e32 v4, v28, v30
	v_sub_f32_e32 v18, v52, v50
	;; [unrolled: 1-line block ×3, first 2 shown]
	v_add_f32_e32 v18, v18, v19
	v_fmamk_f32 v19, v4, 0x3f737871, v11
	v_sub_f32_e32 v20, v26, v48
	v_fmac_f32_e32 v11, 0xbf737871, v4
	v_fmac_f32_e32 v19, 0x3f167918, v20
	;; [unrolled: 1-line block ×3, first 2 shown]
	v_add_f32_e32 v22, v52, v55
	v_fmac_f32_e32 v19, 0x3e9e377a, v18
	v_fmac_f32_e32 v11, 0x3e9e377a, v18
	v_add_f32_e32 v18, v5, v52
	v_fmac_f32_e32 v5, -0.5, v22
	v_sub_f32_e32 v22, v50, v52
	v_sub_f32_e32 v34, v56, v55
	v_add_f32_e32 v22, v22, v34
	v_fmamk_f32 v34, v20, 0xbf737871, v5
	v_fmac_f32_e32 v5, 0x3f737871, v20
	v_fmac_f32_e32 v34, 0x3f167918, v4
	;; [unrolled: 1-line block ×3, first 2 shown]
	v_sub_f32_e32 v4, v1, v3
	v_pk_mul_f32 v[16:17], v[16:17], s[2:3]
	v_fmamk_f32 v20, v4, 0x3f737871, v38
	v_fmac_f32_e32 v38, 0xbf737871, v4
	v_add_f32_e32 v20, v17, v20
	v_sub_f32_e32 v17, v38, v17
	v_fmac_f32_e32 v34, 0x3e9e377a, v22
	v_fmac_f32_e32 v5, 0x3e9e377a, v22
	v_add_f32_e32 v20, v16, v20
	v_add_f32_e32 v22, v16, v17
	v_sub_f32_e32 v16, v10, v8
	v_sub_f32_e32 v17, v47, v49
	v_fmac_f32_e32 v9, 0x3f167918, v4
	v_fmac_f32_e32 v2, 0xbf167918, v4
	v_add_f32_e32 v4, v18, v50
	v_add_f32_e32 v16, v16, v17
	;; [unrolled: 1-line block ×3, first 2 shown]
	v_fmac_f32_e32 v9, 0x3e9e377a, v16
	v_fmac_f32_e32 v2, 0x3e9e377a, v16
	v_add_f32_e32 v16, v4, v55
	v_add_f32_e32 v4, v37, v10
	;; [unrolled: 1-line block ×3, first 2 shown]
	v_lshlrev_b32_sdwa v23, v63, v76 dst_sel:DWORD dst_unused:UNUSED_PAD src0_sel:DWORD src1_sel:BYTE_0
	v_add_f32_e32 v17, v4, v49
	v_mul_u32_u24_e32 v4, 0x21c, v75
	v_add3_u32 v4, 0, v4, v23
	v_lshlrev_b32_sdwa v32, v63, v78 dst_sel:DWORD dst_unused:UNUSED_PAD src0_sel:DWORD src1_sel:BYTE_0
	ds_write2_b32 v6, v36, v35 offset0:54 offset1:81
	ds_write_b32 v6, v33 offset:432
	ds_write2_b32 v4, v16, v19 offset1:27
	ds_write2_b32 v4, v34, v5 offset0:54 offset1:81
	ds_write_b32 v4, v11 offset:432
	v_mul_u32_u24_e32 v5, 0x21c, v77
	v_add3_u32 v5, 0, v5, v32
	ds_write2_b32 v5, v17, v20 offset1:27
	ds_write2_b32 v5, v9, v2 offset0:54 offset1:81
	ds_write_b32 v5, v22 offset:432
	s_waitcnt lgkmcnt(0)
	; wave barrier
	s_waitcnt lgkmcnt(0)
	ds_read2_b32 v[38:39], v60 offset1:63
	ds_read2_b32 v[44:45], v60 offset0:135 offset1:198
	ds_read2_b32 v[34:35], v29 offset0:14 offset1:77
	;; [unrolled: 1-line block ×5, first 2 shown]
	v_add_u32_e32 v2, 0xc00, v60
	ds_read2_b32 v[42:43], v2 offset0:42 offset1:105
                                        ; implicit-def: $vgpr20
                                        ; implicit-def: $vgpr16
                                        ; implicit-def: $vgpr18
	s_and_saveexec_b64 s[2:3], vcc
	s_cbranch_execz .LBB0_13
; %bb.12:
	v_add_u32_e32 v9, 0x100, v60
	ds_read2_b32 v[22:23], v9 offset0:62 offset1:197
	ds_read2_b32 v[16:17], v46 offset0:12 offset1:147
	;; [unrolled: 1-line block ×3, first 2 shown]
	ds_read_b32 v20, v60 offset:3744
.LBB0_13:
	s_or_b64 exec, exec, s[2:3]
	v_add_f32_e32 v11, v53, v54
	v_fma_f32 v11, -0.5, v11, v24
	v_sub_f32_e32 v31, v58, v62
	v_fmamk_f32 v46, v31, 0xbf737871, v11
	v_sub_f32_e32 v58, v59, v61
	v_sub_f32_e32 v59, v51, v53
	;; [unrolled: 1-line block ×3, first 2 shown]
	v_fmac_f32_e32 v11, 0x3f737871, v31
	v_fmac_f32_e32 v46, 0xbf167918, v58
	v_add_f32_e32 v59, v59, v61
	v_fmac_f32_e32 v11, 0x3f167918, v58
	v_fmac_f32_e32 v46, 0x3e9e377a, v59
	;; [unrolled: 1-line block ×3, first 2 shown]
	v_add_f32_e32 v59, v51, v57
	v_add_f32_e32 v9, v24, v51
	v_fma_f32 v24, -0.5, v59, v24
	v_add_f32_e32 v9, v9, v53
	v_fmamk_f32 v59, v58, 0x3f737871, v24
	v_sub_f32_e32 v51, v53, v51
	v_sub_f32_e32 v53, v54, v57
	v_fmac_f32_e32 v24, 0xbf737871, v58
	v_fmac_f32_e32 v59, 0xbf167918, v31
	v_add_f32_e32 v51, v51, v53
	v_fmac_f32_e32 v24, 0x3f167918, v31
	v_fmac_f32_e32 v59, 0x3e9e377a, v51
	v_fmac_f32_e32 v24, 0x3e9e377a, v51
	v_add_f32_e32 v51, v26, v48
	v_fma_f32 v51, -0.5, v51, v25
	v_sub_f32_e32 v52, v52, v55
	v_add_f32_e32 v9, v9, v54
	v_fmamk_f32 v53, v52, 0xbf737871, v51
	v_sub_f32_e32 v50, v50, v56
	v_sub_f32_e32 v54, v28, v26
	;; [unrolled: 1-line block ×3, first 2 shown]
	v_fmac_f32_e32 v51, 0x3f737871, v52
	v_add_f32_e32 v31, v25, v28
	v_fmac_f32_e32 v53, 0xbf167918, v50
	v_add_f32_e32 v54, v54, v55
	v_fmac_f32_e32 v51, 0x3f167918, v50
	v_add_f32_e32 v31, v31, v26
	v_fmac_f32_e32 v53, 0x3e9e377a, v54
	v_fmac_f32_e32 v51, 0x3e9e377a, v54
	v_add_f32_e32 v54, v28, v30
	v_sub_f32_e32 v26, v26, v28
	v_sub_f32_e32 v28, v48, v30
	v_add_f32_e32 v31, v31, v48
	v_fmac_f32_e32 v25, -0.5, v54
	v_add_f32_e32 v26, v26, v28
	v_add_f32_e32 v28, v21, v7
	;; [unrolled: 1-line block ×3, first 2 shown]
	v_fmamk_f32 v54, v50, 0x3f737871, v25
	v_fmac_f32_e32 v25, 0xbf737871, v50
	v_fma_f32 v30, -0.5, v28, v0
	v_sub_f32_e32 v8, v8, v49
	v_fmac_f32_e32 v54, 0xbf167918, v52
	v_fmac_f32_e32 v25, 0x3f167918, v52
	v_fmamk_f32 v28, v8, 0xbf737871, v30
	v_sub_f32_e32 v10, v10, v47
	v_sub_f32_e32 v47, v1, v21
	;; [unrolled: 1-line block ×3, first 2 shown]
	v_fmac_f32_e32 v30, 0x3f737871, v8
	v_fmac_f32_e32 v54, 0x3e9e377a, v26
	;; [unrolled: 1-line block ×3, first 2 shown]
	v_add_f32_e32 v26, v0, v1
	v_fmac_f32_e32 v28, 0xbf167918, v10
	v_add_f32_e32 v47, v47, v48
	v_fmac_f32_e32 v30, 0x3f167918, v10
	;; [unrolled: 2-line block ×3, first 2 shown]
	v_fmac_f32_e32 v30, 0x3e9e377a, v47
	v_add_f32_e32 v47, v1, v3
	v_add_f32_e32 v26, v26, v7
	v_fmac_f32_e32 v0, -0.5, v47
	v_add_f32_e32 v26, v26, v3
	v_fmamk_f32 v47, v10, 0x3f737871, v0
	v_sub_f32_e32 v1, v21, v1
	v_sub_f32_e32 v3, v7, v3
	v_fmac_f32_e32 v47, 0xbf167918, v8
	v_add_f32_e32 v1, v1, v3
	v_fmac_f32_e32 v0, 0xbf737871, v10
	v_add_f32_e32 v9, v9, v57
	v_fmac_f32_e32 v47, 0x3e9e377a, v1
	v_fmac_f32_e32 v0, 0x3f167918, v8
	;; [unrolled: 1-line block ×3, first 2 shown]
	s_waitcnt lgkmcnt(0)
	; wave barrier
	s_waitcnt lgkmcnt(0)
	ds_write2_b32 v6, v9, v46 offset1:27
	ds_write2_b32 v6, v59, v24 offset0:54 offset1:81
	ds_write_b32 v6, v11 offset:432
	ds_write2_b32 v4, v31, v53 offset1:27
	ds_write2_b32 v4, v54, v25 offset0:54 offset1:81
	ds_write_b32 v4, v51 offset:432
	;; [unrolled: 3-line block ×3, first 2 shown]
	s_waitcnt lgkmcnt(0)
	; wave barrier
	s_waitcnt lgkmcnt(0)
	ds_read2_b32 v[46:47], v60 offset1:63
	ds_read2_b32 v[56:57], v60 offset0:135 offset1:198
	ds_read2_b32 v[48:49], v29 offset0:14 offset1:77
	;; [unrolled: 1-line block ×6, first 2 shown]
                                        ; implicit-def: $vgpr24
                                        ; implicit-def: $vgpr26
                                        ; implicit-def: $vgpr28
	s_and_saveexec_b64 s[2:3], vcc
	s_cbranch_execz .LBB0_15
; %bb.14:
	v_add_u32_e32 v0, 0x100, v60
	ds_read2_b32 v[30:31], v0 offset0:62 offset1:197
	v_add_u32_e32 v0, 0x600, v60
	ds_read2_b32 v[26:27], v0 offset0:12 offset1:147
	;; [unrolled: 2-line block ×3, first 2 shown]
	ds_read_b32 v24, v60 offset:3744
.LBB0_15:
	s_or_b64 exec, exec, s[2:3]
	s_and_saveexec_b64 s[2:3], s[0:1]
	s_cbranch_execz .LBB0_18
; %bb.16:
	v_mul_u32_u24_e32 v0, 6, v12
	v_lshlrev_b32_e32 v21, 3, v0
	global_load_dwordx4 v[4:7], v21, s[4:5] offset:1088
	global_load_dwordx4 v[0:3], v21, s[4:5] offset:1072
	;; [unrolled: 1-line block ×3, first 2 shown]
	v_mul_u32_u24_e32 v13, 6, v13
	v_lshlrev_b32_e32 v21, 3, v13
	s_waitcnt lgkmcnt(1)
	v_mov_b32_e32 v64, v54
	v_mov_b32_e32 v65, v52
	;; [unrolled: 1-line block ×6, first 2 shown]
	s_mov_b32 s6, 0xbf08b237
	s_mov_b32 s10, 0x3f4a47b2
	;; [unrolled: 1-line block ×10, first 2 shown]
	global_load_dwordx4 v[68:71], v21, s[4:5] offset:1088
	s_mov_b32 s16, 0x3f3bfb3b
	s_mov_b32 s14, 0x3f5ff5aa
	s_movk_i32 s0, 0x1000
	s_waitcnt vmcnt(3) lgkmcnt(0)
	v_mul_f32_e32 v13, v58, v7
	v_mul_f32_e32 v25, v54, v5
	;; [unrolled: 1-line block ×3, first 2 shown]
	s_waitcnt vmcnt(2)
	v_mul_f32_e32 v7, v52, v0
	v_mul_f32_e32 v75, v36, v1
	v_mov_b32_e32 v76, v4
	v_fma_f32 v74, v40, v4, -v25
	v_fmac_f32_e32 v72, v58, v6
	v_fma_f32 v80, v42, v6, -v13
	v_mov_b32_e32 v77, v1
	v_mov_b32_e32 v79, v0
	v_mov_b32_e32 v1, v3
	s_waitcnt vmcnt(1)
	v_mul_f32_e32 v4, v56, v9
	v_mul_f32_e32 v6, v48, v11
	v_mov_b32_e32 v0, v10
	v_mul_f32_e32 v82, v44, v9
	v_mov_b32_e32 v36, v5
	v_mov_b32_e32 v78, v5
	v_mul_f32_e32 v5, v50, v2
	v_mul_f32_e32 v81, v32, v3
	v_mov_b32_e32 v3, v2
	v_mov_b32_e32 v2, v11
	v_fma_f32 v4, v44, v8, -v4
	v_fma_f32 v6, v34, v10, -v6
	v_fmac_f32_e32 v82, v56, v8
	v_mov_b32_e32 v8, v11
	v_mov_b32_e32 v10, v34
	v_mov_b32_e32 v11, v32
	v_pk_mul_f32 v[64:65], v[64:65], v[76:77]
	v_pk_mul_f32 v[0:1], v[60:61], v[0:1]
	v_pk_fma_f32 v[60:61], v[62:63], v[78:79], v[64:65] neg_lo:[0,0,1] neg_hi:[0,0,1]
	v_pk_fma_f32 v[62:63], v[40:41], v[36:37], v[64:65]
	v_pk_fma_f32 v[2:3], v[10:11], v[2:3], v[0:1] neg_lo:[0,0,1] neg_hi:[0,0,1]
	v_pk_fma_f32 v[0:1], v[34:35], v[8:9], v[0:1]
	v_sub_f32_e32 v73, v6, v74
	v_pk_add_f32 v[6:7], v[6:7], v[74:75]
	v_pk_add_f32 v[10:11], v[4:5], v[80:81]
	v_mov_b32_e32 v63, v61
	v_mov_b32_e32 v1, v3
	;; [unrolled: 1-line block ×6, first 2 shown]
	v_pk_add_f32 v[74:75], v[0:1], v[62:63]
	v_pk_add_f32 v[62:63], v[0:1], v[62:63] neg_lo:[0,1] neg_hi:[0,1]
	v_add_f32_e32 v9, v82, v72
	v_mov_b32_e32 v8, v3
	v_mov_b32_e32 v60, v61
	v_pk_add_f32 v[64:65], v[4:5], v[64:65] neg_lo:[0,1] neg_hi:[0,1]
	v_mov_b32_e32 v83, v63
	v_mov_b32_e32 v61, v74
	v_pk_add_f32 v[2:3], v[10:11], v[6:7]
	v_pk_add_f32 v[0:1], v[62:63], v[72:73]
	;; [unrolled: 1-line block ×3, first 2 shown]
	v_pk_add_f32 v[78:79], v[82:83], v[72:73] neg_lo:[0,1] neg_hi:[0,1]
	v_pk_add_f32 v[60:61], v[8:9], v[60:61]
	v_mov_b32_e32 v11, v3
	v_mov_b32_e32 v5, v65
	;; [unrolled: 1-line block ×3, first 2 shown]
	v_pk_add_f32 v[0:1], v[2:3], v[60:61]
	v_mov_b32_e32 v61, v74
	v_mov_b32_e32 v76, v38
	;; [unrolled: 1-line block ×4, first 2 shown]
	v_pk_add_f32 v[80:81], v[4:5], v[78:79]
	v_mov_b32_e32 v79, v63
	v_pk_add_f32 v[4:5], v[10:11], v[60:61] neg_lo:[0,1] neg_hi:[0,1]
	v_mov_b32_e32 v7, v3
	v_pk_add_f32 v[2:3], v[76:77], v[0:1]
	v_mov_b32_e32 v61, v9
	v_pk_mul_f32 v[76:77], v[4:5], s[10:11]
	v_pk_add_f32 v[4:5], v[78:79], v[72:73] neg_lo:[0,1] neg_hi:[0,1]
	v_pk_add_f32 v[60:61], v[60:61], v[6:7] neg_lo:[0,1] neg_hi:[0,1]
	v_pk_mul_f32 v[82:83], v[4:5], s[8:9]
	v_pk_add_f32 v[86:87], v[64:65], v[62:63] neg_lo:[0,1] neg_hi:[0,1]
	v_pk_fma_f32 v[84:85], v[0:1], s[18:19], v[2:3] op_sel_hi:[1,0,1] neg_lo:[1,0,0] neg_hi:[1,0,0]
	v_pk_fma_f32 v[0:1], v[60:61], s[12:13], v[76:77]
	v_pk_fma_f32 v[4:5], v[86:87], s[6:7], v[82:83]
	v_pk_add_f32 v[0:1], v[0:1], v[84:85]
	v_pk_fma_f32 v[4:5], v[80:81], s[2:3], v[4:5] op_sel_hi:[1,0,1]
	v_mov_b32_e32 v13, 0
	v_pk_add_f32 v[88:89], v[0:1], v[4:5]
	v_pk_add_f32 v[90:91], v[0:1], v[4:5] neg_lo:[0,1] neg_hi:[0,1]
	v_lshl_add_u64 v[0:1], v[12:13], 3, v[14:15]
	global_store_dwordx2 v[0:1], v[2:3], off
	v_mov_b32_e32 v2, v88
	v_mov_b32_e32 v3, v91
	global_store_dwordx2 v[0:1], v[2:3], off offset:1080
	global_load_dwordx4 v[2:5], v21, s[4:5] offset:1056
	v_mov_b32_e32 v7, v74
	v_mov_b32_e32 v11, v9
	v_pk_add_f32 v[10:11], v[6:7], v[10:11] neg_lo:[0,1] neg_hi:[0,1]
	global_load_dwordx4 v[6:9], v21, s[4:5] offset:1072
	v_mov_b32_e32 v63, v73
	v_mov_b32_e32 v79, v65
	v_pk_mul_f32 v[14:15], v[86:87], s[6:7]
	v_pk_mul_f32 v[60:61], v[60:61], s[12:13]
	v_pk_add_f32 v[62:63], v[62:63], v[78:79] neg_lo:[0,1] neg_hi:[0,1]
	v_mov_b32_e32 v64, v76
	v_mov_b32_e32 v65, v61
	;; [unrolled: 1-line block ×5, first 2 shown]
	v_pk_fma_f32 v[64:65], v[10:11], s[16:17], v[64:65] op_sel_hi:[1,0,1] neg_lo:[1,0,1] neg_hi:[1,0,1]
	v_pk_fma_f32 v[14:15], v[62:63], s[14:15], v[14:15] op_sel_hi:[1,0,1] neg_lo:[0,0,1] neg_hi:[0,0,1]
	;; [unrolled: 1-line block ×3, first 2 shown]
	v_pk_fma_f32 v[14:15], v[80:81], s[2:3], v[14:15] op_sel_hi:[1,0,1]
	v_pk_add_f32 v[10:11], v[10:11], v[84:85]
	v_mov_b32_e32 v46, v39
	v_mov_b32_e32 v52, v55
	s_waitcnt vmcnt(4)
	v_mov_b32_e32 v38, v68
	v_mov_b32_e32 v32, v41
	;; [unrolled: 1-line block ×6, first 2 shown]
	v_pk_fma_f32 v[72:73], v[62:63], s[14:15], v[72:73] op_sel_hi:[1,0,1] neg_lo:[1,0,1] neg_hi:[1,0,1]
	v_pk_add_f32 v[64:65], v[64:65], v[84:85]
	v_pk_fma_f32 v[72:73], v[80:81], s[2:3], v[72:73] op_sel_hi:[1,0,1]
	v_mov_b32_e32 v91, v89
	v_pk_add_f32 v[74:75], v[64:65], v[72:73]
	v_pk_add_f32 v[64:65], v[64:65], v[72:73] neg_lo:[0,1] neg_hi:[0,1]
	v_mov_b32_e32 v72, v74
	v_mov_b32_e32 v73, v65
	;; [unrolled: 1-line block ×3, first 2 shown]
	global_store_dwordx2 v[0:1], v[72:73], off offset:2160
	s_waitcnt vmcnt(2)
	v_mul_f32_e32 v34, v45, v3
	v_mul_f32_e32 v3, v57, v3
	v_fmac_f32_e32 v34, v57, v2
	v_fma_f32 v2, v45, v2, -v3
	v_pk_add_f32 v[44:45], v[10:11], v[14:15] neg_lo:[0,1] neg_hi:[0,1]
	v_pk_add_f32 v[10:11], v[10:11], v[14:15]
	v_mov_b32_e32 v14, v44
	v_add_co_u32_e64 v44, s[0:1], s0, v0
	v_mov_b32_e32 v15, v11
	v_mul_f32_e32 v3, v59, v71
	v_mov_b32_e32 v11, v45
	v_addc_co_u32_e64 v45, s[0:1], 0, v1, s[0:1]
	s_waitcnt vmcnt(1)
	v_mov_b32_e32 v39, v7
	global_store_dwordx2 v[0:1], v[14:15], off offset:3240
	v_mul_f32_e32 v14, v43, v71
	global_store_dwordx2 v[44:45], v[10:11], off offset:224
	v_fma_f32 v10, v43, v70, -v3
	v_mul_f32_e32 v3, v49, v5
	v_mul_f32_e32 v43, v53, v6
	v_pk_mul_f32 v[38:39], v[52:53], v[38:39]
	v_mov_b32_e32 v52, v69
	v_mov_b32_e32 v53, v6
	v_fma_f32 v42, v35, v4, -v3
	v_mul_f32_e32 v3, v55, v69
	v_mul_f32_e32 v57, v37, v7
	v_pk_fma_f32 v[6:7], v[32:33], v[40:41], v[38:39]
	v_pk_fma_f32 v[36:37], v[36:37], v[52:53], v[38:39] neg_lo:[0,0,1] neg_hi:[0,0,1]
	v_mov_b32_e32 v38, v4
	v_mov_b32_e32 v39, v9
	v_fma_f32 v56, v41, v68, -v3
	v_pk_mul_f32 v[38:39], v[50:51], v[38:39]
	v_mov_b32_e32 v4, v35
	v_mov_b32_e32 v32, v35
	v_mov_b32_e32 v36, v5
	v_mov_b32_e32 v40, v5
	v_mov_b32_e32 v41, v8
	v_mul_f32_e32 v3, v51, v8
	v_mul_f32_e32 v11, v33, v9
	v_pk_fma_f32 v[4:5], v[4:5], v[36:37], v[38:39]
	v_pk_fma_f32 v[8:9], v[32:33], v[40:41], v[38:39] neg_lo:[0,0,1] neg_hi:[0,0,1]
	v_mov_b32_e32 v7, v37
	v_mov_b32_e32 v5, v9
	v_pk_add_f32 v[32:33], v[4:5], v[6:7]
	v_pk_add_f32 v[4:5], v[4:5], v[6:7] neg_lo:[0,1] neg_hi:[0,1]
	v_fmac_f32_e32 v14, v59, v70
	v_sub_f32_e32 v15, v42, v56
	v_mov_b32_e32 v35, v5
	v_add_f32_e32 v59, v34, v14
	v_pk_add_f32 v[60:61], v[2:3], v[10:11]
	v_pk_add_f32 v[42:43], v[42:43], v[56:57]
	v_pk_add_f32 v[6:7], v[34:35], v[14:15] neg_lo:[0,1] neg_hi:[0,1]
	v_pk_add_f32 v[34:35], v[4:5], v[14:15]
	v_mov_b32_e32 v3, v10
	v_mov_b32_e32 v7, v35
	;; [unrolled: 1-line block ×5, first 2 shown]
	v_pk_add_f32 v[2:3], v[34:35], v[2:3] neg_lo:[0,1] neg_hi:[0,1]
	v_mov_b32_e32 v58, v9
	v_pk_add_f32 v[38:39], v[2:3], v[4:5]
	v_mov_b32_e32 v8, v37
	v_mov_b32_e32 v9, v32
	v_pk_add_f32 v[56:57], v[60:61], v[42:43]
	v_mov_b32_e32 v39, v3
	v_pk_add_f32 v[8:9], v[58:59], v[8:9]
	v_pk_add_f32 v[38:39], v[38:39], v[6:7]
	v_mov_b32_e32 v7, v5
	v_mov_b32_e32 v14, v2
	v_pk_add_f32 v[36:37], v[56:57], v[8:9]
	v_mov_b32_e32 v61, v57
	v_mov_b32_e32 v9, v32
	v_pk_add_f32 v[40:41], v[6:7], v[14:15] neg_lo:[0,1] neg_hi:[0,1]
	v_pk_add_f32 v[48:49], v[60:61], v[8:9] neg_lo:[0,1] neg_hi:[0,1]
	v_mov_b32_e32 v9, v59
	v_mov_b32_e32 v43, v57
	v_pk_add_f32 v[10:11], v[2:3], v[4:5] neg_lo:[0,1] neg_hi:[0,1]
	v_pk_mul_f32 v[40:41], v[40:41], s[8:9]
	v_pk_add_f32 v[46:47], v[46:47], v[36:37]
	v_pk_mul_f32 v[48:49], v[48:49], s[10:11]
	v_pk_add_f32 v[8:9], v[8:9], v[42:43] neg_lo:[0,1] neg_hi:[0,1]
	v_pk_mul_f32 v[34:35], v[10:11], s[6:7]
	v_pk_mul_f32 v[50:51], v[8:9], s[12:13]
	v_pk_fma_f32 v[8:9], v[8:9], s[12:13], v[48:49]
	v_pk_fma_f32 v[36:37], v[36:37], s[18:19], v[46:47] op_sel_hi:[1,0,1] neg_lo:[1,0,0] neg_hi:[1,0,0]
	v_pk_fma_f32 v[10:11], v[10:11], s[6:7], v[40:41]
	v_pk_add_f32 v[8:9], v[8:9], v[36:37]
	v_pk_fma_f32 v[10:11], v[38:39], s[2:3], v[10:11] op_sel_hi:[1,0,1]
	v_mov_b32_e32 v43, v32
	v_pk_add_f32 v[52:53], v[8:9], v[10:11]
	v_pk_add_f32 v[8:9], v[8:9], v[10:11] neg_lo:[0,1] neg_hi:[0,1]
	v_mov_b32_e32 v10, v52
	v_mov_b32_e32 v11, v9
	;; [unrolled: 1-line block ×5, first 2 shown]
	global_store_dwordx2 v[0:1], v[10:11], off offset:1584
	v_pk_add_f32 v[10:11], v[42:43], v[60:61] neg_lo:[0,1] neg_hi:[0,1]
	v_pk_add_f32 v[2:3], v[4:5], v[6:7] neg_lo:[0,1] neg_hi:[0,1]
	v_mov_b32_e32 v4, v48
	v_mov_b32_e32 v5, v51
	;; [unrolled: 1-line block ×4, first 2 shown]
	v_pk_fma_f32 v[4:5], v[10:11], s[16:17], v[4:5] op_sel_hi:[1,0,1] neg_lo:[1,0,1] neg_hi:[1,0,1]
	v_pk_fma_f32 v[6:7], v[2:3], s[14:15], v[6:7] op_sel_hi:[1,0,1] neg_lo:[1,0,1] neg_hi:[1,0,1]
	v_pk_add_f32 v[4:5], v[4:5], v[36:37]
	v_pk_fma_f32 v[6:7], v[38:39], s[2:3], v[6:7] op_sel_hi:[1,0,1]
	v_mov_b32_e32 v35, v41
	v_pk_add_f32 v[14:15], v[4:5], v[6:7]
	v_pk_add_f32 v[4:5], v[4:5], v[6:7] neg_lo:[0,1] neg_hi:[0,1]
	v_mov_b32_e32 v6, v14
	v_mov_b32_e32 v7, v5
	;; [unrolled: 1-line block ×3, first 2 shown]
	global_store_dwordx2 v[0:1], v[6:7], off offset:2664
	v_pk_fma_f32 v[2:3], v[2:3], s[14:15], v[34:35] op_sel_hi:[1,0,1] neg_lo:[0,0,1] neg_hi:[0,0,1]
	v_pk_fma_f32 v[6:7], v[10:11], s[16:17], v[50:51] op_sel_hi:[1,0,1] neg_lo:[0,0,1] neg_hi:[0,0,1]
	v_pk_fma_f32 v[2:3], v[38:39], s[2:3], v[2:3] op_sel_hi:[1,0,1]
	v_pk_add_f32 v[6:7], v[6:7], v[36:37]
	v_mov_b32_e32 v5, v15
	v_pk_add_f32 v[10:11], v[6:7], v[2:3] neg_lo:[0,1] neg_hi:[0,1]
	v_pk_add_f32 v[2:3], v[6:7], v[2:3]
	v_mov_b32_e32 v6, v10
	v_mov_b32_e32 v7, v3
	;; [unrolled: 1-line block ×4, first 2 shown]
	global_store_dwordx2 v[44:45], v[64:65], off offset:1304
	global_store_dwordx2 v[44:45], v[90:91], off offset:2384
	;; [unrolled: 1-line block ×7, first 2 shown]
	s_and_b64 exec, exec, vcc
	s_cbranch_execz .LBB0_18
; %bb.17:
	v_add_u32_e32 v2, -9, v12
	v_cndmask_b32_e32 v2, v2, v66, vcc
	v_mul_i32_i24_e32 v12, 6, v2
	v_lshl_add_u64 v[14:15], v[12:13], 3, s[4:5]
	global_load_dwordx4 v[2:5], v[14:15], off offset:1056
	global_load_dwordx4 v[6:9], v[14:15], off offset:1072
	;; [unrolled: 1-line block ×3, first 2 shown]
	v_mov_b32_e32 v41, v30
	v_mov_b32_e32 v30, v23
	v_mov_b32_e32 v33, v17
	v_mov_b32_e32 v35, v18
	v_mov_b32_e32 v36, v29
	v_mov_b32_e32 v37, v27
	v_mov_b32_e32 v38, v26
	v_mov_b32_e32 v39, v28
	v_mov_b32_e32 v40, v22
	v_mov_b32_e32 v22, v31
	v_mov_b32_e32 v42, v31
	v_mov_b32_e32 v14, v19
	v_mov_b32_e32 v32, v19
	v_mov_b32_e32 v34, v16
	s_mov_b32 s0, 0xbf955555
	s_waitcnt vmcnt(2)
	v_mul_f32_e32 v23, v26, v5
	s_waitcnt vmcnt(1)
	v_mul_f32_e32 v21, v27, v6
	v_mul_f32_e32 v27, v17, v7
	;; [unrolled: 1-line block ×4, first 2 shown]
	s_waitcnt vmcnt(0)
	v_mul_f32_e32 v25, v29, v11
	v_pk_mul_f32 v[28:29], v[30:31], v[2:3] op_sel_hi:[0,1]
	v_mov_b32_e32 v18, v5
	v_mov_b32_e32 v30, v5
	v_mov_b32_e32 v31, v8
	v_mov_b32_e32 v5, v9
	v_mov_b32_e32 v8, v10
	v_mov_b32_e32 v9, v7
	v_mov_b32_e32 v44, v11
	v_mov_b32_e32 v46, v11
	v_mov_b32_e32 v47, v6
	v_pk_mul_f32 v[6:7], v[20:21], v[12:13] op_sel_hi:[0,1]
	v_fma_f32 v20, v16, v4, -v23
	v_pk_mul_f32 v[4:5], v[38:39], v[4:5]
	v_pk_mul_f32 v[8:9], v[36:37], v[8:9]
	v_fma_f32 v26, v19, v10, -v25
	v_pk_fma_f32 v[10:11], v[22:23], v[2:3], v[28:29] op_sel:[0,0,1] op_sel_hi:[1,1,0]
	v_pk_fma_f32 v[2:3], v[42:43], v[2:3], v[28:29] op_sel:[0,0,1] op_sel_hi:[0,1,0] neg_lo:[1,0,0] neg_hi:[1,0,0]
	v_pk_fma_f32 v[22:23], v[24:25], v[12:13], v[6:7] op_sel:[0,0,1] op_sel_hi:[1,1,0]
	v_pk_fma_f32 v[6:7], v[24:25], v[12:13], v[6:7] op_sel:[0,0,1] op_sel_hi:[0,1,0] neg_lo:[1,0,0] neg_hi:[1,0,0]
	v_pk_fma_f32 v[18:19], v[16:17], v[18:19], v[4:5]
	v_pk_fma_f32 v[4:5], v[34:35], v[30:31], v[4:5] neg_lo:[0,0,1] neg_hi:[0,0,1]
	v_pk_fma_f32 v[24:25], v[14:15], v[44:45], v[8:9]
	v_pk_fma_f32 v[8:9], v[32:33], v[46:47], v[8:9] neg_lo:[0,0,1] neg_hi:[0,0,1]
	v_mov_b32_e32 v11, v3
	v_mov_b32_e32 v23, v7
	;; [unrolled: 1-line block ×6, first 2 shown]
	v_pk_add_f32 v[12:13], v[20:21], v[26:27]
	v_mov_b32_e32 v3, v20
	v_pk_add_f32 v[20:21], v[10:11], v[22:23]
	v_pk_add_f32 v[14:15], v[14:15], v[16:17]
	;; [unrolled: 1-line block ×3, first 2 shown]
	v_mov_b32_e32 v7, v26
	v_mov_b32_e32 v6, v13
	;; [unrolled: 1-line block ×7, first 2 shown]
	v_pk_add_f32 v[10:11], v[10:11], v[22:23] neg_lo:[0,1] neg_hi:[0,1]
	v_pk_add_f32 v[18:19], v[18:19], v[24:25] neg_lo:[0,1] neg_hi:[0,1]
	v_pk_add_f32 v[22:23], v[12:13], v[14:15]
	v_pk_add_f32 v[2:3], v[2:3], v[6:7] neg_lo:[0,1] neg_hi:[0,1]
	v_pk_add_f32 v[4:5], v[4:5], v[8:9]
	v_mov_b32_e32 v25, v20
	v_mov_b32_e32 v27, v11
	;; [unrolled: 1-line block ×10, first 2 shown]
	v_pk_add_f32 v[28:29], v[28:29], v[2:3] neg_lo:[0,1] neg_hi:[0,1]
	v_pk_add_f32 v[26:27], v[26:27], v[18:19] neg_lo:[0,1] neg_hi:[0,1]
	v_pk_add_f32 v[4:5], v[22:23], v[4:5]
	v_pk_add_f32 v[22:23], v[24:25], v[12:13] neg_lo:[0,1] neg_hi:[0,1]
	v_pk_add_f32 v[6:7], v[14:15], v[6:7] neg_lo:[0,1] neg_hi:[0,1]
	v_pk_add_f32 v[8:9], v[18:19], v[2:3]
	v_pk_add_f32 v[24:25], v[40:41], v[4:5]
	v_pk_mul_f32 v[22:23], v[22:23], s[12:13]
	v_pk_mul_f32 v[30:31], v[6:7], s[10:11]
	;; [unrolled: 1-line block ×4, first 2 shown]
	v_mov_b32_e32 v19, v3
	v_mov_b32_e32 v13, v16
	;; [unrolled: 1-line block ×3, first 2 shown]
	v_pk_add_f32 v[8:9], v[8:9], v[10:11]
	v_pk_fma_f32 v[4:5], v[4:5], s[0:1], v[24:25] op_sel_hi:[1,0,1]
	v_pk_fma_f32 v[6:7], v[6:7], s[10:11], v[22:23]
	v_pk_fma_f32 v[28:29], v[28:29], s[8:9], v[26:27]
	v_pk_add_f32 v[2:3], v[18:19], v[10:11] neg_lo:[0,1] neg_hi:[0,1]
	v_pk_add_f32 v[10:11], v[12:13], v[14:15] neg_lo:[0,1] neg_hi:[0,1]
	v_mov_b32_e32 v12, v30
	v_mov_b32_e32 v13, v23
	;; [unrolled: 1-line block ×6, first 2 shown]
	v_pk_add_f32 v[6:7], v[6:7], v[4:5]
	v_pk_fma_f32 v[28:29], v[8:9], s[2:3], v[28:29] op_sel_hi:[1,0,1]
	v_pk_fma_f32 v[12:13], v[10:11], s[16:17], v[12:13] op_sel_hi:[1,0,1] neg_lo:[1,0,1] neg_hi:[1,0,1]
	v_pk_fma_f32 v[14:15], v[2:3], s[14:15], v[14:15] op_sel_hi:[1,0,1] neg_lo:[1,0,1] neg_hi:[1,0,1]
	;; [unrolled: 1-line block ×4, first 2 shown]
	v_pk_add_f32 v[12:13], v[12:13], v[4:5]
	v_pk_add_f32 v[4:5], v[10:11], v[4:5]
	v_pk_fma_f32 v[2:3], v[8:9], s[2:3], v[2:3] op_sel_hi:[1,0,1]
	v_pk_fma_f32 v[8:9], v[8:9], s[2:3], v[14:15] op_sel_hi:[1,0,1]
	v_pk_add_f32 v[10:11], v[6:7], v[28:29]
	v_pk_add_f32 v[6:7], v[6:7], v[28:29] neg_lo:[0,1] neg_hi:[0,1]
	v_pk_add_f32 v[14:15], v[12:13], v[8:9]
	v_pk_add_f32 v[8:9], v[12:13], v[8:9] neg_lo:[0,1] neg_hi:[0,1]
	v_pk_add_f32 v[12:13], v[4:5], v[2:3] neg_lo:[0,1] neg_hi:[0,1]
	v_pk_add_f32 v[2:3], v[4:5], v[2:3]
	v_mov_b32_e32 v4, v10
	v_mov_b32_e32 v5, v7
	global_store_dwordx2 v[0:1], v[4:5], off offset:2088
	v_mov_b32_e32 v4, v14
	v_mov_b32_e32 v5, v9
	global_store_dwordx2 v[0:1], v[24:25], off offset:1008
	global_store_dwordx2 v[0:1], v[4:5], off offset:3168
	v_add_co_u32_e32 v0, vcc, 0x1000, v0
	v_mov_b32_e32 v4, v12
	v_mov_b32_e32 v5, v3
	v_addc_co_u32_e32 v1, vcc, 0, v1, vcc
	v_mov_b32_e32 v3, v13
	v_mov_b32_e32 v9, v15
	;; [unrolled: 1-line block ×3, first 2 shown]
	global_store_dwordx2 v[0:1], v[4:5], off offset:152
	global_store_dwordx2 v[0:1], v[2:3], off offset:1232
	;; [unrolled: 1-line block ×4, first 2 shown]
.LBB0_18:
	s_endpgm
	.section	.rodata,"a",@progbits
	.p2align	6, 0x0
	.amdhsa_kernel fft_rtc_fwd_len945_factors_3_3_3_5_7_wgs_63_tpt_63_halfLds_sp_ip_CI_unitstride_sbrr_dirReg
		.amdhsa_group_segment_fixed_size 0
		.amdhsa_private_segment_fixed_size 0
		.amdhsa_kernarg_size 88
		.amdhsa_user_sgpr_count 2
		.amdhsa_user_sgpr_dispatch_ptr 0
		.amdhsa_user_sgpr_queue_ptr 0
		.amdhsa_user_sgpr_kernarg_segment_ptr 1
		.amdhsa_user_sgpr_dispatch_id 0
		.amdhsa_user_sgpr_kernarg_preload_length 0
		.amdhsa_user_sgpr_kernarg_preload_offset 0
		.amdhsa_user_sgpr_private_segment_size 0
		.amdhsa_uses_dynamic_stack 0
		.amdhsa_enable_private_segment 0
		.amdhsa_system_sgpr_workgroup_id_x 1
		.amdhsa_system_sgpr_workgroup_id_y 0
		.amdhsa_system_sgpr_workgroup_id_z 0
		.amdhsa_system_sgpr_workgroup_info 0
		.amdhsa_system_vgpr_workitem_id 0
		.amdhsa_next_free_vgpr 92
		.amdhsa_next_free_sgpr 22
		.amdhsa_accum_offset 92
		.amdhsa_reserve_vcc 1
		.amdhsa_float_round_mode_32 0
		.amdhsa_float_round_mode_16_64 0
		.amdhsa_float_denorm_mode_32 3
		.amdhsa_float_denorm_mode_16_64 3
		.amdhsa_dx10_clamp 1
		.amdhsa_ieee_mode 1
		.amdhsa_fp16_overflow 0
		.amdhsa_tg_split 0
		.amdhsa_exception_fp_ieee_invalid_op 0
		.amdhsa_exception_fp_denorm_src 0
		.amdhsa_exception_fp_ieee_div_zero 0
		.amdhsa_exception_fp_ieee_overflow 0
		.amdhsa_exception_fp_ieee_underflow 0
		.amdhsa_exception_fp_ieee_inexact 0
		.amdhsa_exception_int_div_zero 0
	.end_amdhsa_kernel
	.text
.Lfunc_end0:
	.size	fft_rtc_fwd_len945_factors_3_3_3_5_7_wgs_63_tpt_63_halfLds_sp_ip_CI_unitstride_sbrr_dirReg, .Lfunc_end0-fft_rtc_fwd_len945_factors_3_3_3_5_7_wgs_63_tpt_63_halfLds_sp_ip_CI_unitstride_sbrr_dirReg
                                        ; -- End function
	.section	.AMDGPU.csdata,"",@progbits
; Kernel info:
; codeLenInByte = 9484
; NumSgprs: 28
; NumVgprs: 92
; NumAgprs: 0
; TotalNumVgprs: 92
; ScratchSize: 0
; MemoryBound: 0
; FloatMode: 240
; IeeeMode: 1
; LDSByteSize: 0 bytes/workgroup (compile time only)
; SGPRBlocks: 3
; VGPRBlocks: 11
; NumSGPRsForWavesPerEU: 28
; NumVGPRsForWavesPerEU: 92
; AccumOffset: 92
; Occupancy: 5
; WaveLimiterHint : 1
; COMPUTE_PGM_RSRC2:SCRATCH_EN: 0
; COMPUTE_PGM_RSRC2:USER_SGPR: 2
; COMPUTE_PGM_RSRC2:TRAP_HANDLER: 0
; COMPUTE_PGM_RSRC2:TGID_X_EN: 1
; COMPUTE_PGM_RSRC2:TGID_Y_EN: 0
; COMPUTE_PGM_RSRC2:TGID_Z_EN: 0
; COMPUTE_PGM_RSRC2:TIDIG_COMP_CNT: 0
; COMPUTE_PGM_RSRC3_GFX90A:ACCUM_OFFSET: 22
; COMPUTE_PGM_RSRC3_GFX90A:TG_SPLIT: 0
	.text
	.p2alignl 6, 3212836864
	.fill 256, 4, 3212836864
	.type	__hip_cuid_332bdf41e4079924,@object ; @__hip_cuid_332bdf41e4079924
	.section	.bss,"aw",@nobits
	.globl	__hip_cuid_332bdf41e4079924
__hip_cuid_332bdf41e4079924:
	.byte	0                               ; 0x0
	.size	__hip_cuid_332bdf41e4079924, 1

	.ident	"AMD clang version 19.0.0git (https://github.com/RadeonOpenCompute/llvm-project roc-6.4.0 25133 c7fe45cf4b819c5991fe208aaa96edf142730f1d)"
	.section	".note.GNU-stack","",@progbits
	.addrsig
	.addrsig_sym __hip_cuid_332bdf41e4079924
	.amdgpu_metadata
---
amdhsa.kernels:
  - .agpr_count:     0
    .args:
      - .actual_access:  read_only
        .address_space:  global
        .offset:         0
        .size:           8
        .value_kind:     global_buffer
      - .offset:         8
        .size:           8
        .value_kind:     by_value
      - .actual_access:  read_only
        .address_space:  global
        .offset:         16
        .size:           8
        .value_kind:     global_buffer
      - .actual_access:  read_only
        .address_space:  global
        .offset:         24
        .size:           8
        .value_kind:     global_buffer
      - .offset:         32
        .size:           8
        .value_kind:     by_value
      - .actual_access:  read_only
        .address_space:  global
        .offset:         40
        .size:           8
        .value_kind:     global_buffer
      - .actual_access:  read_only
        .address_space:  global
        .offset:         48
        .size:           8
        .value_kind:     global_buffer
      - .offset:         56
        .size:           4
        .value_kind:     by_value
      - .actual_access:  read_only
        .address_space:  global
        .offset:         64
        .size:           8
        .value_kind:     global_buffer
      - .actual_access:  read_only
        .address_space:  global
        .offset:         72
        .size:           8
        .value_kind:     global_buffer
      - .address_space:  global
        .offset:         80
        .size:           8
        .value_kind:     global_buffer
    .group_segment_fixed_size: 0
    .kernarg_segment_align: 8
    .kernarg_segment_size: 88
    .language:       OpenCL C
    .language_version:
      - 2
      - 0
    .max_flat_workgroup_size: 63
    .name:           fft_rtc_fwd_len945_factors_3_3_3_5_7_wgs_63_tpt_63_halfLds_sp_ip_CI_unitstride_sbrr_dirReg
    .private_segment_fixed_size: 0
    .sgpr_count:     28
    .sgpr_spill_count: 0
    .symbol:         fft_rtc_fwd_len945_factors_3_3_3_5_7_wgs_63_tpt_63_halfLds_sp_ip_CI_unitstride_sbrr_dirReg.kd
    .uniform_work_group_size: 1
    .uses_dynamic_stack: false
    .vgpr_count:     92
    .vgpr_spill_count: 0
    .wavefront_size: 64
amdhsa.target:   amdgcn-amd-amdhsa--gfx950
amdhsa.version:
  - 1
  - 2
...

	.end_amdgpu_metadata
